;; amdgpu-corpus repo=ROCm/rocFFT kind=compiled arch=gfx906 opt=O3
	.text
	.amdgcn_target "amdgcn-amd-amdhsa--gfx906"
	.amdhsa_code_object_version 6
	.protected	fft_rtc_fwd_len289_factors_17_17_wgs_119_tpt_17_halfLds_dp_ip_CI_sbrr_dirReg ; -- Begin function fft_rtc_fwd_len289_factors_17_17_wgs_119_tpt_17_halfLds_dp_ip_CI_sbrr_dirReg
	.globl	fft_rtc_fwd_len289_factors_17_17_wgs_119_tpt_17_halfLds_dp_ip_CI_sbrr_dirReg
	.p2align	8
	.type	fft_rtc_fwd_len289_factors_17_17_wgs_119_tpt_17_halfLds_dp_ip_CI_sbrr_dirReg,@function
fft_rtc_fwd_len289_factors_17_17_wgs_119_tpt_17_halfLds_dp_ip_CI_sbrr_dirReg: ; @fft_rtc_fwd_len289_factors_17_17_wgs_119_tpt_17_halfLds_dp_ip_CI_sbrr_dirReg
; %bb.0:
	s_load_dwordx2 s[14:15], s[4:5], 0x18
	s_load_dwordx4 s[8:11], s[4:5], 0x0
	s_load_dwordx2 s[12:13], s[4:5], 0x50
	v_mul_u32_u24_e32 v1, 0xf10, v0
	v_lshrrev_b32_e32 v1, 16, v1
	v_mad_u64_u32 v[70:71], s[0:1], s6, 7, v[1:2]
	s_waitcnt lgkmcnt(0)
	s_load_dwordx2 s[2:3], s[14:15], 0x0
	v_mov_b32_e32 v3, 0
	v_cmp_lt_u64_e64 s[0:1], s[10:11], 2
	v_mov_b32_e32 v71, v3
	v_mov_b32_e32 v1, 0
	;; [unrolled: 1-line block ×3, first 2 shown]
	s_and_b64 vcc, exec, s[0:1]
	v_mov_b32_e32 v2, 0
	v_mov_b32_e32 v8, v71
	s_cbranch_vccnz .LBB0_8
; %bb.1:
	s_load_dwordx2 s[0:1], s[4:5], 0x10
	s_add_u32 s6, s14, 8
	s_addc_u32 s7, s15, 0
	v_mov_b32_e32 v1, 0
	v_mov_b32_e32 v5, v70
	s_waitcnt lgkmcnt(0)
	s_add_u32 s18, s0, 8
	s_mov_b64 s[16:17], 1
	v_mov_b32_e32 v2, 0
	s_addc_u32 s19, s1, 0
	v_mov_b32_e32 v6, v71
.LBB0_2:                                ; =>This Inner Loop Header: Depth=1
	s_load_dwordx2 s[20:21], s[18:19], 0x0
                                        ; implicit-def: $vgpr7_vgpr8
	s_waitcnt lgkmcnt(0)
	v_or_b32_e32 v4, s21, v6
	v_cmp_ne_u64_e32 vcc, 0, v[3:4]
	s_and_saveexec_b64 s[0:1], vcc
	s_xor_b64 s[22:23], exec, s[0:1]
	s_cbranch_execz .LBB0_4
; %bb.3:                                ;   in Loop: Header=BB0_2 Depth=1
	v_cvt_f32_u32_e32 v4, s20
	v_cvt_f32_u32_e32 v7, s21
	s_sub_u32 s0, 0, s20
	s_subb_u32 s1, 0, s21
	v_mac_f32_e32 v4, 0x4f800000, v7
	v_rcp_f32_e32 v4, v4
	v_mul_f32_e32 v4, 0x5f7ffffc, v4
	v_mul_f32_e32 v7, 0x2f800000, v4
	v_trunc_f32_e32 v7, v7
	v_mac_f32_e32 v4, 0xcf800000, v7
	v_cvt_u32_f32_e32 v7, v7
	v_cvt_u32_f32_e32 v4, v4
	v_mul_lo_u32 v8, s0, v7
	v_mul_hi_u32 v9, s0, v4
	v_mul_lo_u32 v11, s1, v4
	v_mul_lo_u32 v10, s0, v4
	v_add_u32_e32 v8, v9, v8
	v_add_u32_e32 v8, v8, v11
	v_mul_hi_u32 v9, v4, v10
	v_mul_lo_u32 v11, v4, v8
	v_mul_hi_u32 v13, v4, v8
	v_mul_hi_u32 v12, v7, v10
	v_mul_lo_u32 v10, v7, v10
	v_mul_hi_u32 v14, v7, v8
	v_add_co_u32_e32 v9, vcc, v9, v11
	v_addc_co_u32_e32 v11, vcc, 0, v13, vcc
	v_mul_lo_u32 v8, v7, v8
	v_add_co_u32_e32 v9, vcc, v9, v10
	v_addc_co_u32_e32 v9, vcc, v11, v12, vcc
	v_addc_co_u32_e32 v10, vcc, 0, v14, vcc
	v_add_co_u32_e32 v8, vcc, v9, v8
	v_addc_co_u32_e32 v9, vcc, 0, v10, vcc
	v_add_co_u32_e32 v4, vcc, v4, v8
	v_addc_co_u32_e32 v7, vcc, v7, v9, vcc
	v_mul_lo_u32 v8, s0, v7
	v_mul_hi_u32 v9, s0, v4
	v_mul_lo_u32 v10, s1, v4
	v_mul_lo_u32 v11, s0, v4
	v_add_u32_e32 v8, v9, v8
	v_add_u32_e32 v8, v8, v10
	v_mul_lo_u32 v12, v4, v8
	v_mul_hi_u32 v13, v4, v11
	v_mul_hi_u32 v14, v4, v8
	;; [unrolled: 1-line block ×3, first 2 shown]
	v_mul_lo_u32 v11, v7, v11
	v_mul_hi_u32 v9, v7, v8
	v_add_co_u32_e32 v12, vcc, v13, v12
	v_addc_co_u32_e32 v13, vcc, 0, v14, vcc
	v_mul_lo_u32 v8, v7, v8
	v_add_co_u32_e32 v11, vcc, v12, v11
	v_addc_co_u32_e32 v10, vcc, v13, v10, vcc
	v_addc_co_u32_e32 v9, vcc, 0, v9, vcc
	v_add_co_u32_e32 v8, vcc, v10, v8
	v_addc_co_u32_e32 v9, vcc, 0, v9, vcc
	v_add_co_u32_e32 v4, vcc, v4, v8
	v_addc_co_u32_e32 v9, vcc, v7, v9, vcc
	v_mad_u64_u32 v[7:8], s[0:1], v5, v9, 0
	v_mul_hi_u32 v10, v5, v4
	v_add_co_u32_e32 v11, vcc, v10, v7
	v_addc_co_u32_e32 v12, vcc, 0, v8, vcc
	v_mad_u64_u32 v[7:8], s[0:1], v6, v4, 0
	v_mad_u64_u32 v[9:10], s[0:1], v6, v9, 0
	v_add_co_u32_e32 v4, vcc, v11, v7
	v_addc_co_u32_e32 v4, vcc, v12, v8, vcc
	v_addc_co_u32_e32 v7, vcc, 0, v10, vcc
	v_add_co_u32_e32 v4, vcc, v4, v9
	v_addc_co_u32_e32 v9, vcc, 0, v7, vcc
	v_mul_lo_u32 v10, s21, v4
	v_mul_lo_u32 v11, s20, v9
	v_mad_u64_u32 v[7:8], s[0:1], s20, v4, 0
	v_add3_u32 v8, v8, v11, v10
	v_sub_u32_e32 v10, v6, v8
	v_mov_b32_e32 v11, s21
	v_sub_co_u32_e32 v7, vcc, v5, v7
	v_subb_co_u32_e64 v10, s[0:1], v10, v11, vcc
	v_subrev_co_u32_e64 v11, s[0:1], s20, v7
	v_subbrev_co_u32_e64 v10, s[0:1], 0, v10, s[0:1]
	v_cmp_le_u32_e64 s[0:1], s21, v10
	v_cndmask_b32_e64 v12, 0, -1, s[0:1]
	v_cmp_le_u32_e64 s[0:1], s20, v11
	v_cndmask_b32_e64 v11, 0, -1, s[0:1]
	v_cmp_eq_u32_e64 s[0:1], s21, v10
	v_cndmask_b32_e64 v10, v12, v11, s[0:1]
	v_add_co_u32_e64 v11, s[0:1], 2, v4
	v_addc_co_u32_e64 v12, s[0:1], 0, v9, s[0:1]
	v_add_co_u32_e64 v13, s[0:1], 1, v4
	v_addc_co_u32_e64 v14, s[0:1], 0, v9, s[0:1]
	v_subb_co_u32_e32 v8, vcc, v6, v8, vcc
	v_cmp_ne_u32_e64 s[0:1], 0, v10
	v_cmp_le_u32_e32 vcc, s21, v8
	v_cndmask_b32_e64 v10, v14, v12, s[0:1]
	v_cndmask_b32_e64 v12, 0, -1, vcc
	v_cmp_le_u32_e32 vcc, s20, v7
	v_cndmask_b32_e64 v7, 0, -1, vcc
	v_cmp_eq_u32_e32 vcc, s21, v8
	v_cndmask_b32_e32 v7, v12, v7, vcc
	v_cmp_ne_u32_e32 vcc, 0, v7
	v_cndmask_b32_e64 v7, v13, v11, s[0:1]
	v_cndmask_b32_e32 v8, v9, v10, vcc
	v_cndmask_b32_e32 v7, v4, v7, vcc
.LBB0_4:                                ;   in Loop: Header=BB0_2 Depth=1
	s_andn2_saveexec_b64 s[0:1], s[22:23]
	s_cbranch_execz .LBB0_6
; %bb.5:                                ;   in Loop: Header=BB0_2 Depth=1
	v_cvt_f32_u32_e32 v4, s20
	s_sub_i32 s22, 0, s20
	v_rcp_iflag_f32_e32 v4, v4
	v_mul_f32_e32 v4, 0x4f7ffffe, v4
	v_cvt_u32_f32_e32 v4, v4
	v_mul_lo_u32 v7, s22, v4
	v_mul_hi_u32 v7, v4, v7
	v_add_u32_e32 v4, v4, v7
	v_mul_hi_u32 v4, v5, v4
	v_mul_lo_u32 v7, v4, s20
	v_add_u32_e32 v8, 1, v4
	v_sub_u32_e32 v7, v5, v7
	v_subrev_u32_e32 v9, s20, v7
	v_cmp_le_u32_e32 vcc, s20, v7
	v_cndmask_b32_e32 v7, v7, v9, vcc
	v_cndmask_b32_e32 v4, v4, v8, vcc
	v_add_u32_e32 v8, 1, v4
	v_cmp_le_u32_e32 vcc, s20, v7
	v_cndmask_b32_e32 v7, v4, v8, vcc
	v_mov_b32_e32 v8, v3
.LBB0_6:                                ;   in Loop: Header=BB0_2 Depth=1
	s_or_b64 exec, exec, s[0:1]
	v_mul_lo_u32 v4, v8, s20
	v_mul_lo_u32 v11, v7, s21
	v_mad_u64_u32 v[9:10], s[0:1], v7, s20, 0
	s_load_dwordx2 s[0:1], s[6:7], 0x0
	s_add_u32 s16, s16, 1
	v_add3_u32 v4, v10, v11, v4
	v_sub_co_u32_e32 v5, vcc, v5, v9
	v_subb_co_u32_e32 v4, vcc, v6, v4, vcc
	s_waitcnt lgkmcnt(0)
	v_mul_lo_u32 v4, s0, v4
	v_mul_lo_u32 v6, s1, v5
	v_mad_u64_u32 v[1:2], s[0:1], s0, v5, v[1:2]
	s_addc_u32 s17, s17, 0
	s_add_u32 s6, s6, 8
	v_add3_u32 v2, v6, v2, v4
	v_mov_b32_e32 v4, s10
	v_mov_b32_e32 v5, s11
	s_addc_u32 s7, s7, 0
	v_cmp_ge_u64_e32 vcc, s[16:17], v[4:5]
	s_add_u32 s18, s18, 8
	s_addc_u32 s19, s19, 0
	s_cbranch_vccnz .LBB0_8
; %bb.7:                                ;   in Loop: Header=BB0_2 Depth=1
	v_mov_b32_e32 v5, v7
	v_mov_b32_e32 v6, v8
	s_branch .LBB0_2
.LBB0_8:
	s_lshl_b64 s[0:1], s[10:11], 3
	s_add_u32 s0, s14, s0
	s_addc_u32 s1, s15, s1
	s_load_dwordx2 s[6:7], s[0:1], 0x0
	s_load_dwordx2 s[10:11], s[4:5], 0x20
	v_mov_b32_e32 v178, 0
                                        ; implicit-def: $vgpr14_vgpr15
                                        ; implicit-def: $vgpr10_vgpr11
                                        ; implicit-def: $vgpr18_vgpr19
                                        ; implicit-def: $vgpr22_vgpr23
                                        ; implicit-def: $vgpr26_vgpr27
                                        ; implicit-def: $vgpr30_vgpr31
                                        ; implicit-def: $vgpr34_vgpr35
                                        ; implicit-def: $vgpr38_vgpr39
                                        ; implicit-def: $vgpr42_vgpr43
                                        ; implicit-def: $vgpr50_vgpr51
                                        ; implicit-def: $vgpr62_vgpr63
                                        ; implicit-def: $vgpr66_vgpr67
                                        ; implicit-def: $vgpr58_vgpr59
                                        ; implicit-def: $vgpr54_vgpr55
                                        ; implicit-def: $vgpr46_vgpr47
	s_waitcnt lgkmcnt(0)
	v_mad_u64_u32 v[1:2], s[0:1], s6, v7, v[1:2]
	v_mul_lo_u32 v3, s6, v8
	v_mul_lo_u32 v4, s7, v7
	s_mov_b32 s0, 0xf0f0f10
	v_mul_hi_u32 v5, v0, s0
	v_cmp_gt_u64_e32 vcc, s[10:11], v[7:8]
	v_add3_u32 v2, v4, v2, v3
	v_lshlrev_b64 v[68:69], 4, v[1:2]
	v_mul_u32_u24_e32 v3, 17, v5
	v_sub_u32_e32 v109, v0, v3
                                        ; implicit-def: $vgpr6_vgpr7
                                        ; implicit-def: $vgpr2_vgpr3
	s_and_saveexec_b64 s[4:5], vcc
	s_cbranch_execz .LBB0_10
; %bb.9:
	v_mad_u64_u32 v[0:1], s[0:1], s2, v109, 0
	v_add_u32_e32 v5, 17, v109
	v_mov_b32_e32 v4, s13
	v_mad_u64_u32 v[1:2], s[0:1], s3, v109, v[1:2]
	v_mad_u64_u32 v[2:3], s[0:1], s2, v5, 0
	v_add_co_u32_e64 v10, s[0:1], s12, v68
	v_addc_co_u32_e64 v11, s[0:1], v4, v69, s[0:1]
	v_mad_u64_u32 v[3:4], s[0:1], s3, v5, v[3:4]
	v_add_u32_e32 v8, 34, v109
	v_mad_u64_u32 v[4:5], s[0:1], s2, v8, 0
	v_lshlrev_b64 v[0:1], 4, v[0:1]
	v_mov_b32_e32 v178, v109
	v_add_co_u32_e64 v6, s[0:1], v10, v0
	v_addc_co_u32_e64 v7, s[0:1], v11, v1, s[0:1]
	v_lshlrev_b64 v[0:1], 4, v[2:3]
	v_mov_b32_e32 v2, v5
	v_mad_u64_u32 v[2:3], s[0:1], s3, v8, v[2:3]
	v_add_u32_e32 v3, 51, v109
	v_mad_u64_u32 v[8:9], s[0:1], s2, v3, 0
	v_add_co_u32_e64 v12, s[0:1], v10, v0
	v_mov_b32_e32 v5, v2
	v_mov_b32_e32 v2, v9
	v_addc_co_u32_e64 v13, s[0:1], v11, v1, s[0:1]
	v_lshlrev_b64 v[0:1], 4, v[4:5]
	v_mad_u64_u32 v[2:3], s[0:1], s3, v3, v[2:3]
	v_add_u32_e32 v5, 0x44, v109
	v_mad_u64_u32 v[3:4], s[0:1], s2, v5, 0
	v_add_co_u32_e64 v14, s[0:1], v10, v0
	v_mov_b32_e32 v9, v2
	v_mov_b32_e32 v2, v4
	v_addc_co_u32_e64 v15, s[0:1], v11, v1, s[0:1]
	v_mad_u64_u32 v[4:5], s[0:1], s3, v5, v[2:3]
	v_add_u32_e32 v5, 0x55, v109
	v_lshlrev_b64 v[0:1], 4, v[8:9]
	v_mad_u64_u32 v[8:9], s[0:1], s2, v5, 0
	v_add_co_u32_e64 v71, s[0:1], v10, v0
	v_mov_b32_e32 v2, v9
	v_addc_co_u32_e64 v72, s[0:1], v11, v1, s[0:1]
	v_lshlrev_b64 v[0:1], 4, v[3:4]
	v_mad_u64_u32 v[2:3], s[0:1], s3, v5, v[2:3]
	v_add_u32_e32 v5, 0x66, v109
	v_mad_u64_u32 v[3:4], s[0:1], s2, v5, 0
	v_add_co_u32_e64 v73, s[0:1], v10, v0
	v_mov_b32_e32 v9, v2
	v_mov_b32_e32 v2, v4
	v_addc_co_u32_e64 v74, s[0:1], v11, v1, s[0:1]
	v_mad_u64_u32 v[4:5], s[0:1], s3, v5, v[2:3]
	v_add_u32_e32 v5, 0x77, v109
	v_lshlrev_b64 v[0:1], 4, v[8:9]
	v_mad_u64_u32 v[8:9], s[0:1], s2, v5, 0
	v_add_co_u32_e64 v75, s[0:1], v10, v0
	;; [unrolled: 15-line block ×6, first 2 shown]
	v_mov_b32_e32 v2, v9
	v_addc_co_u32_e64 v92, s[0:1], v11, v1, s[0:1]
	v_lshlrev_b64 v[0:1], 4, v[3:4]
	v_mad_u64_u32 v[2:3], s[0:1], s3, v5, v[2:3]
	v_add_u32_e32 v5, 0x110, v109
	v_mad_u64_u32 v[3:4], s[0:1], s2, v5, 0
	v_add_co_u32_e64 v93, s[0:1], v10, v0
	v_mov_b32_e32 v9, v2
	v_mov_b32_e32 v2, v4
	v_addc_co_u32_e64 v94, s[0:1], v11, v1, s[0:1]
	v_mad_u64_u32 v[4:5], s[0:1], s3, v5, v[2:3]
	v_lshlrev_b64 v[0:1], 4, v[8:9]
	v_add_co_u32_e64 v95, s[0:1], v10, v0
	v_addc_co_u32_e64 v96, s[0:1], v11, v1, s[0:1]
	v_lshlrev_b64 v[0:1], 4, v[3:4]
	v_add_co_u32_e64 v97, s[0:1], v10, v0
	v_addc_co_u32_e64 v98, s[0:1], v11, v1, s[0:1]
	global_load_dwordx4 v[0:3], v[6:7], off
	global_load_dwordx4 v[44:47], v[12:13], off
	;; [unrolled: 1-line block ×15, first 2 shown]
                                        ; kill: killed $vgpr79 killed $vgpr80
                                        ; kill: killed $vgpr81 killed $vgpr82
                                        ; kill: killed $vgpr6 killed $vgpr7
                                        ; kill: killed $vgpr83 killed $vgpr84
                                        ; kill: killed $vgpr12 killed $vgpr13
                                        ; kill: killed $vgpr85 killed $vgpr86
                                        ; kill: killed $vgpr14 killed $vgpr15
                                        ; kill: killed $vgpr87 killed $vgpr88
                                        ; kill: killed $vgpr71 killed $vgpr72
                                        ; kill: killed $vgpr89 killed $vgpr90
                                        ; kill: killed $vgpr73 killed $vgpr74
                                        ; kill: killed $vgpr91 killed $vgpr92
                                        ; kill: killed $vgpr75 killed $vgpr76
                                        ; kill: killed $vgpr93 killed $vgpr94
                                        ; kill: killed $vgpr77 killed $vgpr78
	global_load_dwordx4 v[12:15], v[95:96], off
	global_load_dwordx4 v[4:7], v[97:98], off
.LBB0_10:
	s_or_b64 exec, exec, s[4:5]
	s_waitcnt vmcnt(15)
	v_add_f64 v[73:74], v[44:45], v[0:1]
	v_add_f64 v[77:78], v[46:47], v[2:3]
	s_waitcnt vmcnt(4)
	v_add_f64 v[101:102], v[20:21], v[60:61]
	v_add_f64 v[95:96], v[22:23], v[62:63]
	v_add_f64 v[93:94], v[24:25], v[48:49]
	v_add_f64 v[91:92], v[48:49], -v[24:25]
	v_add_f64 v[85:86], v[28:29], v[40:41]
	v_add_f64 v[79:80], v[30:31], v[42:43]
	v_add_f64 v[87:88], v[52:53], v[73:74]
	v_add_f64 v[89:90], v[54:55], v[77:78]
	v_add_f64 v[83:84], v[40:41], -v[28:29]
	v_add_f64 v[81:82], v[42:43], -v[30:31]
	v_add_f64 v[75:76], v[32:33], v[36:37]
	v_add_f64 v[71:72], v[34:35], v[38:39]
	v_add_f64 v[77:78], v[36:37], -v[32:33]
	v_add_f64 v[73:74], v[38:39], -v[34:35]
	v_add_f64 v[97:98], v[56:57], v[87:88]
	v_add_f64 v[99:100], v[58:59], v[89:90]
	;; [unrolled: 1-line block ×3, first 2 shown]
	v_add_f64 v[89:90], v[50:51], -v[26:27]
	s_waitcnt vmcnt(3)
	v_add_f64 v[107:108], v[16:17], v[64:65]
	v_add_f64 v[103:104], v[18:19], v[66:67]
	v_add_f64 v[105:106], v[64:65], -v[16:17]
	s_mov_b32 s4, 0x910ea3b9
	v_add_f64 v[110:111], v[64:65], v[97:98]
	v_add_f64 v[112:113], v[66:67], v[99:100]
	v_add_f64 v[99:100], v[60:61], -v[20:21]
	v_add_f64 v[97:98], v[62:63], -v[22:23]
	;; [unrolled: 1-line block ×3, first 2 shown]
	s_waitcnt vmcnt(2)
	v_add_f64 v[66:67], v[8:9], v[56:57]
	v_add_f64 v[56:57], v[56:57], -v[8:9]
	s_mov_b32 s5, 0xbfeb34fa
	v_add_f64 v[60:61], v[60:61], v[110:111]
	v_add_f64 v[62:63], v[62:63], v[112:113]
	;; [unrolled: 1-line block ×3, first 2 shown]
	v_add_f64 v[58:59], v[58:59], -v[10:11]
	s_mov_b32 s26, 0x370991
	s_mov_b32 s36, 0x5d8e7cdc
	;; [unrolled: 1-line block ×4, first 2 shown]
	v_add_f64 v[48:49], v[48:49], v[60:61]
	v_add_f64 v[50:51], v[50:51], v[62:63]
	s_waitcnt vmcnt(0)
	v_add_f64 v[60:61], v[4:5], v[44:45]
	v_add_f64 v[62:63], v[6:7], v[46:47]
	v_add_f64 v[44:45], v[44:45], -v[4:5]
	v_add_f64 v[46:47], v[46:47], -v[6:7]
	s_mov_b32 s18, 0x2b2883cd
	s_mov_b32 s52, 0x7c9e640b
	v_add_f64 v[40:41], v[40:41], v[48:49]
	v_add_f64 v[42:43], v[42:43], v[50:51]
	s_mov_b32 s14, 0x3259b75e
	s_mov_b32 s50, 0xeb564b22
	s_mov_b32 s6, 0xc61f0d01
	s_mov_b32 s44, 0x923c349f
	s_mov_b32 s0, 0x6ed5f1bb
	s_mov_b32 s42, 0x6c9a05f6
	v_add_f64 v[36:37], v[36:37], v[40:41]
	v_add_f64 v[38:39], v[38:39], v[42:43]
	s_mov_b32 s46, 0x4363dd80
	s_mov_b32 s34, 0x7faef3
	s_mov_b32 s48, 0xacd6c6b4
	s_mov_b32 s27, 0x3fedd6d0
	;; [unrolled: 8-line block ×3, first 2 shown]
	s_mov_b32 s53, 0x3feca52d
	s_mov_b32 s25, 0xbfeca52d
	v_add_f64 v[28:29], v[28:29], v[32:33]
	v_add_f64 v[30:31], v[30:31], v[34:35]
	v_mul_f64 v[34:35], v[60:61], s[4:5]
	s_mov_b32 s15, 0x3fb79ee6
	s_mov_b32 s51, 0x3fefdd0d
	s_mov_b32 s21, 0xbfefdd0d
	s_mov_b32 s7, 0xbfd183b1
	s_mov_b32 s45, 0x3feec746
	v_add_f64 v[24:25], v[24:25], v[28:29]
	v_add_f64 v[26:27], v[26:27], v[30:31]
	s_mov_b32 s17, 0xbfeec746
	s_mov_b32 s1, 0xbfe348c8
	s_mov_b32 s43, 0x3fe9895b
	s_mov_b32 s11, 0xbfe9895b
	s_mov_b32 s30, s36
	s_mov_b32 s28, s54
	v_add_f64 v[20:21], v[20:21], v[24:25]
	v_add_f64 v[22:23], v[22:23], v[26:27]
	s_mov_b32 s24, s52
	;; [unrolled: 8-line block ×3, first 2 shown]
	s_mov_b32 s38, s46
	s_mov_b32 s49, 0x3fc7851a
	;; [unrolled: 1-line block ×4, first 2 shown]
	v_mul_f64 v[24:25], v[60:61], s[26:27]
	v_add_f64 v[8:9], v[8:9], v[16:17]
	v_add_f64 v[10:11], v[10:11], v[18:19]
	v_mul_f64 v[20:21], v[60:61], s[22:23]
	v_mul_f64 v[22:23], v[60:61], s[18:19]
	v_mul_f64 v[26:27], v[60:61], s[14:15]
	v_mul_f64 v[28:29], v[60:61], s[6:7]
	v_mul_f64 v[30:31], v[60:61], s[0:1]
	v_mul_f64 v[40:41], v[44:45], s[28:29]
	v_add_f64 v[8:9], v[12:13], v[8:9]
	v_add_f64 v[10:11], v[14:15], v[10:11]
	v_mul_f64 v[42:43], v[44:45], s[24:25]
	v_mul_f64 v[116:117], v[44:45], s[16:17]
	;; [unrolled: 1-line block ×4, first 2 shown]
	v_add_f64 v[112:113], v[12:13], v[52:53]
	v_add_f64 v[114:115], v[14:15], v[54:55]
	;; [unrolled: 1-line block ×4, first 2 shown]
	v_mul_f64 v[6:7], v[60:61], s[34:35]
	v_fma_f64 v[8:9], v[46:47], s[46:47], v[34:35]
	v_fma_f64 v[10:11], v[46:47], s[38:39], v[34:35]
	v_mul_f64 v[34:35], v[44:45], s[30:31]
	v_mul_f64 v[60:61], v[44:45], s[20:21]
	;; [unrolled: 1-line block ×3, first 2 shown]
	v_add_f64 v[52:53], v[52:53], -v[12:13]
	v_add_f64 v[54:55], v[54:55], -v[14:15]
	v_fma_f64 v[16:17], v[46:47], s[36:37], v[24:25]
	v_fma_f64 v[18:19], v[46:47], s[30:31], v[24:25]
	;; [unrolled: 1-line block ×20, first 2 shown]
	s_mov_b32 s33, 0x24924925
	v_fma_f64 v[46:47], v[62:63], s[26:27], v[34:35]
	v_fma_f64 v[34:35], v[62:63], s[26:27], -v[34:35]
	v_fma_f64 v[50:51], v[62:63], s[22:23], v[40:41]
	v_fma_f64 v[40:41], v[62:63], s[22:23], -v[40:41]
	v_fma_f64 v[42:43], v[62:63], s[18:19], -v[42:43]
	v_fma_f64 v[60:61], v[62:63], s[14:15], -v[60:61]
	v_fma_f64 v[116:117], v[62:63], s[6:7], -v[116:117]
	v_fma_f64 v[120:121], v[62:63], s[0:1], -v[120:121]
	v_fma_f64 v[122:123], v[62:63], s[4:5], -v[122:123]
	v_fma_f64 v[44:45], v[62:63], s[34:35], -v[44:45]
	v_add_f64 v[16:17], v[0:1], v[16:17]
	v_add_f64 v[18:19], v[0:1], v[18:19]
	;; [unrolled: 1-line block ×21, first 2 shown]
	v_mul_hi_u32 v134, v70, s33
	v_mul_f64 v[132:133], v[112:113], s[22:23]
	v_add_f64 v[6:7], v[0:1], v[6:7]
	v_mul_f64 v[0:1], v[52:53], s[28:29]
	v_sub_u32_e32 v135, v70, v134
	v_lshrrev_b32_e32 v135, 1, v135
	v_add_u32_e32 v134, v135, v134
	v_lshrrev_b32_e32 v134, 2, v134
	v_add_f64 v[46:47], v[2:3], v[46:47]
	v_add_f64 v[34:35], v[2:3], v[34:35]
	;; [unrolled: 1-line block ×9, first 2 shown]
	v_mul_lo_u32 v142, v134, 7
	v_fma_f64 v[134:135], v[54:55], s[54:55], v[132:133]
	v_mul_f64 v[136:137], v[112:113], s[14:15]
	v_fma_f64 v[138:139], v[114:115], s[22:23], v[0:1]
	v_mul_f64 v[140:141], v[52:53], s[20:21]
	v_fma_f64 v[132:133], v[54:55], s[28:29], v[132:133]
	v_add_f64 v[2:3], v[2:3], v[44:45]
	v_fma_f64 v[44:45], v[114:115], s[22:23], -v[0:1]
	v_sub_u32_e32 v0, v70, v142
	v_add_f64 v[16:17], v[134:135], v[16:17]
	v_fma_f64 v[134:135], v[54:55], s[50:51], v[136:137]
	v_add_f64 v[46:47], v[138:139], v[46:47]
	v_fma_f64 v[138:139], v[114:115], s[14:15], v[140:141]
	v_add_f64 v[18:19], v[132:133], v[18:19]
	v_mul_f64 v[132:133], v[112:113], s[0:1]
	v_add_f64 v[34:35], v[44:45], v[34:35]
	v_mul_f64 v[44:45], v[52:53], s[10:11]
	v_fma_f64 v[136:137], v[54:55], s[20:21], v[136:137]
	v_add_f64 v[24:25], v[134:135], v[24:25]
	v_fma_f64 v[134:135], v[114:115], s[14:15], -v[140:141]
	v_add_f64 v[50:51], v[138:139], v[50:51]
	v_mul_f64 v[138:139], v[112:113], s[34:35]
	v_fma_f64 v[140:141], v[54:55], s[42:43], v[132:133]
	v_mul_f64 v[142:143], v[52:53], s[40:41]
	v_fma_f64 v[144:145], v[114:115], s[0:1], v[44:45]
	v_fma_f64 v[132:133], v[54:55], s[10:11], v[132:133]
	v_fma_f64 v[44:45], v[114:115], s[0:1], -v[44:45]
	v_add_f64 v[20:21], v[136:137], v[20:21]
	v_add_f64 v[40:41], v[134:135], v[40:41]
	v_fma_f64 v[134:135], v[54:55], s[48:49], v[138:139]
	v_add_f64 v[36:37], v[140:141], v[36:37]
	v_fma_f64 v[136:137], v[114:115], s[34:35], v[142:143]
	v_mul_f64 v[140:141], v[112:113], s[4:5]
	v_add_f64 v[22:23], v[132:133], v[22:23]
	v_mul_f64 v[132:133], v[52:53], s[46:47]
	v_add_f64 v[42:43], v[44:45], v[42:43]
	v_fma_f64 v[44:45], v[54:55], s[40:41], v[138:139]
	v_mul_f64 v[138:139], v[112:113], s[6:7]
	v_add_f64 v[62:63], v[144:145], v[62:63]
	v_add_f64 v[12:13], v[134:135], v[12:13]
	;; [unrolled: 1-line block ×3, first 2 shown]
	v_fma_f64 v[134:135], v[114:115], s[34:35], -v[142:143]
	v_fma_f64 v[136:137], v[54:55], s[38:39], v[140:141]
	v_fma_f64 v[142:143], v[114:115], s[4:5], v[132:133]
	v_mul_f64 v[144:145], v[52:53], s[44:45]
	v_add_f64 v[14:15], v[44:45], v[14:15]
	v_fma_f64 v[44:45], v[114:115], s[4:5], -v[132:133]
	v_fma_f64 v[132:133], v[54:55], s[16:17], v[138:139]
	v_fma_f64 v[140:141], v[54:55], s[46:47], v[140:141]
	v_add_f64 v[60:61], v[134:135], v[60:61]
	v_add_f64 v[26:27], v[136:137], v[26:27]
	v_fma_f64 v[136:137], v[54:55], s[44:45], v[138:139]
	v_fma_f64 v[134:135], v[114:115], s[6:7], v[144:145]
	v_mul_f64 v[138:139], v[112:113], s[18:19]
	v_add_f64 v[44:45], v[44:45], v[116:117]
	v_fma_f64 v[116:117], v[114:115], s[6:7], -v[144:145]
	v_add_f64 v[38:39], v[132:133], v[38:39]
	v_mul_f64 v[112:113], v[112:113], s[26:27]
	v_mul_f64 v[132:133], v[52:53], s[52:53]
	;; [unrolled: 1-line block ×3, first 2 shown]
	v_add_f64 v[126:127], v[134:135], v[126:127]
	v_add_f64 v[30:31], v[136:137], v[30:31]
	v_fma_f64 v[134:135], v[54:55], s[52:53], v[138:139]
	v_add_f64 v[116:117], v[116:117], v[120:121]
	v_fma_f64 v[120:121], v[54:55], s[24:25], v[138:139]
	v_fma_f64 v[136:137], v[54:55], s[30:31], v[112:113]
	;; [unrolled: 1-line block ×4, first 2 shown]
	v_fma_f64 v[112:113], v[114:115], s[18:19], -v[132:133]
	v_fma_f64 v[132:133], v[114:115], s[26:27], v[52:53]
	v_fma_f64 v[52:53], v[114:115], s[26:27], -v[52:53]
	v_mul_f64 v[114:115], v[66:67], s[18:19]
	v_add_f64 v[8:9], v[120:121], v[8:9]
	v_mul_f64 v[120:121], v[56:57], s[24:25]
	v_add_f64 v[48:49], v[136:137], v[48:49]
	;; [unrolled: 2-line block ×3, first 2 shown]
	v_add_f64 v[122:123], v[132:133], v[130:131]
	v_mul_f64 v[132:133], v[66:67], s[0:1]
	v_add_f64 v[10:11], v[134:135], v[10:11]
	v_fma_f64 v[130:131], v[58:59], s[52:53], v[114:115]
	v_fma_f64 v[134:135], v[110:111], s[18:19], v[120:121]
	v_fma_f64 v[114:115], v[58:59], s[24:25], v[114:115]
	v_add_f64 v[6:7], v[54:55], v[6:7]
	v_fma_f64 v[54:55], v[110:111], s[18:19], -v[120:121]
	v_add_f64 v[1:2], v[52:53], v[2:3]
	v_fma_f64 v[52:53], v[58:59], s[42:43], v[132:133]
	v_fma_f64 v[120:121], v[110:111], s[0:1], v[136:137]
	v_add_f64 v[16:17], v[130:131], v[16:17]
	v_add_f64 v[46:47], v[134:135], v[46:47]
	;; [unrolled: 1-line block ×3, first 2 shown]
	v_mul_f64 v[114:115], v[66:67], s[34:35]
	v_add_f64 v[34:35], v[54:55], v[34:35]
	v_mul_f64 v[54:55], v[56:57], s[48:49]
	v_fma_f64 v[130:131], v[58:59], s[10:11], v[132:133]
	v_add_f64 v[24:25], v[52:53], v[24:25]
	v_fma_f64 v[52:53], v[110:111], s[0:1], -v[136:137]
	v_add_f64 v[50:51], v[120:121], v[50:51]
	v_mul_f64 v[120:121], v[66:67], s[6:7]
	v_mul_f64 v[134:135], v[56:57], s[44:45]
	v_fma_f64 v[132:133], v[58:59], s[40:41], v[114:115]
	v_fma_f64 v[136:137], v[110:111], s[34:35], v[54:55]
	v_add_f64 v[20:21], v[130:131], v[20:21]
	v_fma_f64 v[114:115], v[58:59], s[48:49], v[114:115]
	v_add_f64 v[40:41], v[52:53], v[40:41]
	v_fma_f64 v[52:53], v[110:111], s[34:35], -v[54:55]
	v_fma_f64 v[54:55], v[58:59], s[16:17], v[120:121]
	v_fma_f64 v[130:131], v[110:111], s[6:7], v[134:135]
	v_add_f64 v[36:37], v[132:133], v[36:37]
	v_mul_f64 v[132:133], v[66:67], s[22:23]
	v_add_f64 v[124:125], v[142:143], v[124:125]
	v_add_f64 v[22:23], v[114:115], v[22:23]
	v_mul_f64 v[114:115], v[56:57], s[54:55]
	v_add_f64 v[42:43], v[52:53], v[42:43]
	v_add_f64 v[12:13], v[54:55], v[12:13]
	v_fma_f64 v[52:53], v[58:59], s[44:45], v[120:121]
	v_add_f64 v[54:55], v[130:131], v[118:119]
	v_mul_f64 v[130:131], v[66:67], s[26:27]
	v_add_f64 v[62:63], v[136:137], v[62:63]
	v_fma_f64 v[118:119], v[110:111], s[6:7], -v[134:135]
	v_fma_f64 v[120:121], v[58:59], s[28:29], v[132:133]
	v_fma_f64 v[134:135], v[110:111], s[22:23], v[114:115]
	v_mul_f64 v[136:137], v[56:57], s[30:31]
	v_add_f64 v[14:15], v[52:53], v[14:15]
	v_fma_f64 v[52:53], v[110:111], s[22:23], -v[114:115]
	v_fma_f64 v[114:115], v[58:59], s[36:37], v[130:131]
	v_fma_f64 v[132:133], v[58:59], s[54:55], v[132:133]
	v_add_f64 v[60:61], v[118:119], v[60:61]
	v_add_f64 v[26:27], v[120:121], v[26:27]
	;; [unrolled: 1-line block ×3, first 2 shown]
	v_fma_f64 v[120:121], v[110:111], s[26:27], v[136:137]
	v_fma_f64 v[124:125], v[58:59], s[30:31], v[130:131]
	v_add_f64 v[44:45], v[52:53], v[44:45]
	v_fma_f64 v[52:53], v[110:111], s[26:27], -v[136:137]
	v_mul_f64 v[130:131], v[66:67], s[14:15]
	v_add_f64 v[38:39], v[114:115], v[38:39]
	v_mul_f64 v[66:67], v[66:67], s[4:5]
	v_mul_f64 v[114:115], v[56:57], s[20:21]
	;; [unrolled: 1-line block ×3, first 2 shown]
	v_add_f64 v[120:121], v[120:121], v[126:127]
	v_add_f64 v[30:31], v[124:125], v[30:31]
	;; [unrolled: 1-line block ×3, first 2 shown]
	v_fma_f64 v[116:117], v[58:59], s[50:51], v[130:131]
	v_fma_f64 v[124:125], v[58:59], s[20:21], v[130:131]
	;; [unrolled: 1-line block ×5, first 2 shown]
	v_fma_f64 v[66:67], v[110:111], s[14:15], -v[114:115]
	v_fma_f64 v[114:115], v[110:111], s[4:5], v[56:57]
	v_fma_f64 v[56:57], v[110:111], s[4:5], -v[56:57]
	v_mul_f64 v[110:111], v[107:108], s[14:15]
	v_add_f64 v[8:9], v[116:117], v[8:9]
	v_mul_f64 v[116:117], v[105:106], s[20:21]
	v_add_f64 v[48:49], v[126:127], v[48:49]
	;; [unrolled: 2-line block ×3, first 2 shown]
	v_add_f64 v[112:113], v[114:115], v[122:123]
	v_mul_f64 v[122:123], v[107:108], s[34:35]
	v_fma_f64 v[114:115], v[64:65], s[50:51], v[110:111]
	v_add_f64 v[10:11], v[124:125], v[10:11]
	v_fma_f64 v[124:125], v[103:104], s[14:15], v[116:117]
	v_fma_f64 v[110:111], v[64:65], s[20:21], v[110:111]
	v_add_f64 v[6:7], v[58:59], v[6:7]
	v_fma_f64 v[58:59], v[103:104], s[14:15], -v[116:117]
	v_add_f64 v[1:2], v[56:57], v[1:2]
	v_fma_f64 v[56:57], v[64:65], s[48:49], v[122:123]
	v_add_f64 v[16:17], v[114:115], v[16:17]
	v_fma_f64 v[114:115], v[103:104], s[34:35], v[126:127]
	v_add_f64 v[46:47], v[124:125], v[46:47]
	v_add_f64 v[18:19], v[110:111], v[18:19]
	v_mul_f64 v[110:111], v[107:108], s[6:7]
	v_add_f64 v[34:35], v[58:59], v[34:35]
	v_mul_f64 v[58:59], v[105:106], s[44:45]
	v_fma_f64 v[116:117], v[64:65], s[40:41], v[122:123]
	v_add_f64 v[24:25], v[56:57], v[24:25]
	v_fma_f64 v[56:57], v[103:104], s[34:35], -v[126:127]
	v_add_f64 v[50:51], v[114:115], v[50:51]
	v_mul_f64 v[114:115], v[107:108], s[26:27]
	v_mul_f64 v[124:125], v[105:106], s[36:37]
	v_fma_f64 v[122:123], v[64:65], s[16:17], v[110:111]
	v_fma_f64 v[126:127], v[103:104], s[6:7], v[58:59]
	v_add_f64 v[20:21], v[116:117], v[20:21]
	v_fma_f64 v[110:111], v[64:65], s[44:45], v[110:111]
	v_add_f64 v[40:41], v[56:57], v[40:41]
	v_fma_f64 v[56:57], v[103:104], s[6:7], -v[58:59]
	v_fma_f64 v[58:59], v[64:65], s[30:31], v[114:115]
	v_fma_f64 v[116:117], v[103:104], s[26:27], v[124:125]
	v_add_f64 v[36:37], v[122:123], v[36:37]
	v_mul_f64 v[122:123], v[107:108], s[18:19]
	v_add_f64 v[28:29], v[140:141], v[28:29]
	v_add_f64 v[22:23], v[110:111], v[22:23]
	v_mul_f64 v[110:111], v[105:106], s[24:25]
	v_add_f64 v[42:43], v[56:57], v[42:43]
	v_add_f64 v[12:13], v[58:59], v[12:13]
	v_fma_f64 v[56:57], v[64:65], s[36:37], v[114:115]
	v_add_f64 v[54:55], v[116:117], v[54:55]
	v_fma_f64 v[58:59], v[103:104], s[26:27], -v[124:125]
	v_mul_f64 v[116:117], v[107:108], s[4:5]
	v_add_f64 v[62:63], v[126:127], v[62:63]
	v_fma_f64 v[114:115], v[64:65], s[52:53], v[122:123]
	v_fma_f64 v[124:125], v[103:104], s[18:19], v[110:111]
	v_mul_f64 v[126:127], v[105:106], s[38:39]
	v_add_f64 v[14:15], v[56:57], v[14:15]
	v_fma_f64 v[56:57], v[103:104], s[18:19], -v[110:111]
	v_add_f64 v[58:59], v[58:59], v[60:61]
	v_fma_f64 v[60:61], v[64:65], s[46:47], v[116:117]
	v_add_f64 v[28:29], v[132:133], v[28:29]
	v_fma_f64 v[122:123], v[64:65], s[24:25], v[122:123]
	v_add_f64 v[26:27], v[114:115], v[26:27]
	v_add_f64 v[110:111], v[124:125], v[118:119]
	v_fma_f64 v[114:115], v[103:104], s[4:5], v[126:127]
	v_fma_f64 v[116:117], v[64:65], s[38:39], v[116:117]
	v_add_f64 v[44:45], v[56:57], v[44:45]
	v_fma_f64 v[56:57], v[103:104], s[4:5], -v[126:127]
	v_mul_f64 v[118:119], v[107:108], s[0:1]
	v_add_f64 v[38:39], v[60:61], v[38:39]
	v_mul_f64 v[60:61], v[107:108], s[22:23]
	v_mul_f64 v[107:108], v[105:106], s[42:43]
	;; [unrolled: 1-line block ×3, first 2 shown]
	v_add_f64 v[28:29], v[122:123], v[28:29]
	v_add_f64 v[114:115], v[114:115], v[120:121]
	;; [unrolled: 1-line block ×4, first 2 shown]
	v_fma_f64 v[56:57], v[64:65], s[10:11], v[118:119]
	v_fma_f64 v[116:117], v[64:65], s[42:43], v[118:119]
	;; [unrolled: 1-line block ×5, first 2 shown]
	v_fma_f64 v[64:65], v[103:104], s[0:1], -v[107:108]
	v_fma_f64 v[107:108], v[103:104], s[22:23], v[105:106]
	v_mul_f64 v[122:123], v[99:100], s[16:17]
	v_fma_f64 v[103:104], v[103:104], s[22:23], -v[105:106]
	v_mul_f64 v[105:106], v[101:102], s[6:7]
	v_add_f64 v[10:11], v[116:117], v[10:11]
	v_mul_f64 v[116:117], v[101:102], s[4:5]
	v_add_f64 v[6:7], v[60:61], v[6:7]
	v_add_f64 v[64:65], v[64:65], v[66:67]
	;; [unrolled: 1-line block ×3, first 2 shown]
	v_fma_f64 v[112:113], v[95:96], s[6:7], v[122:123]
	v_mul_f64 v[60:61], v[99:100], s[46:47]
	v_fma_f64 v[107:108], v[97:98], s[44:45], v[105:106]
	v_fma_f64 v[105:106], v[97:98], s[16:17], v[105:106]
	v_add_f64 v[128:129], v[138:139], v[128:129]
	v_add_f64 v[48:49], v[118:119], v[48:49]
	v_fma_f64 v[118:119], v[95:96], s[6:7], -v[122:123]
	v_add_f64 v[1:2], v[103:104], v[1:2]
	v_add_f64 v[46:47], v[112:113], v[46:47]
	v_fma_f64 v[112:113], v[95:96], s[4:5], v[60:61]
	v_add_f64 v[16:17], v[107:108], v[16:17]
	v_fma_f64 v[103:104], v[97:98], s[38:39], v[116:117]
	v_mul_f64 v[107:108], v[101:102], s[22:23]
	v_add_f64 v[18:19], v[105:106], v[18:19]
	v_fma_f64 v[105:106], v[97:98], s[46:47], v[116:117]
	v_mul_f64 v[116:117], v[99:100], s[54:55]
	v_fma_f64 v[60:61], v[95:96], s[4:5], -v[60:61]
	v_add_f64 v[50:51], v[112:113], v[50:51]
	v_mul_f64 v[112:113], v[101:102], s[18:19]
	v_add_f64 v[128:129], v[130:131], v[128:129]
	v_add_f64 v[34:35], v[118:119], v[34:35]
	;; [unrolled: 1-line block ×3, first 2 shown]
	v_fma_f64 v[103:104], v[97:98], s[28:29], v[107:108]
	v_mul_f64 v[118:119], v[99:100], s[24:25]
	v_add_f64 v[20:21], v[105:106], v[20:21]
	v_fma_f64 v[105:106], v[95:96], s[22:23], v[116:117]
	v_add_f64 v[40:41], v[60:61], v[40:41]
	v_fma_f64 v[60:61], v[97:98], s[54:55], v[107:108]
	v_fma_f64 v[107:108], v[97:98], s[52:53], v[112:113]
	v_add_f64 v[8:9], v[56:57], v[8:9]
	v_add_f64 v[56:57], v[120:121], v[128:129]
	;; [unrolled: 1-line block ×3, first 2 shown]
	v_fma_f64 v[103:104], v[95:96], s[22:23], -v[116:117]
	v_fma_f64 v[116:117], v[95:96], s[18:19], v[118:119]
	v_mul_f64 v[120:121], v[101:102], s[34:35]
	v_add_f64 v[62:63], v[105:106], v[62:63]
	v_mul_f64 v[105:106], v[99:100], s[40:41]
	v_add_f64 v[22:23], v[60:61], v[22:23]
	v_add_f64 v[12:13], v[107:108], v[12:13]
	v_fma_f64 v[60:61], v[95:96], s[18:19], -v[118:119]
	v_mul_f64 v[107:108], v[101:102], s[14:15]
	v_fma_f64 v[112:113], v[97:98], s[24:25], v[112:113]
	v_add_f64 v[42:43], v[103:104], v[42:43]
	v_add_f64 v[54:55], v[116:117], v[54:55]
	v_fma_f64 v[103:104], v[97:98], s[48:49], v[120:121]
	v_fma_f64 v[116:117], v[95:96], s[34:35], v[105:106]
	;; [unrolled: 1-line block ×3, first 2 shown]
	v_mul_f64 v[120:121], v[99:100], s[50:51]
	v_fma_f64 v[105:106], v[95:96], s[34:35], -v[105:106]
	v_add_f64 v[58:59], v[60:61], v[58:59]
	v_fma_f64 v[60:61], v[97:98], s[20:21], v[107:108]
	v_add_f64 v[14:15], v[112:113], v[14:15]
	v_add_f64 v[26:27], v[103:104], v[26:27]
	;; [unrolled: 1-line block ×3, first 2 shown]
	v_fma_f64 v[107:108], v[97:98], s[50:51], v[107:108]
	v_fma_f64 v[110:111], v[95:96], s[14:15], v[120:121]
	v_add_f64 v[44:45], v[105:106], v[44:45]
	v_fma_f64 v[105:106], v[95:96], s[14:15], -v[120:121]
	v_mul_f64 v[112:113], v[101:102], s[26:27]
	v_add_f64 v[38:39], v[60:61], v[38:39]
	v_mul_f64 v[60:61], v[101:102], s[0:1]
	v_mul_f64 v[101:102], v[99:100], s[30:31]
	;; [unrolled: 1-line block ×3, first 2 shown]
	v_add_f64 v[110:111], v[110:111], v[114:115]
	v_add_f64 v[30:31], v[107:108], v[30:31]
	;; [unrolled: 1-line block ×3, first 2 shown]
	v_fma_f64 v[105:106], v[97:98], s[36:37], v[112:113]
	v_fma_f64 v[107:108], v[97:98], s[30:31], v[112:113]
	;; [unrolled: 1-line block ×5, first 2 shown]
	v_fma_f64 v[97:98], v[95:96], s[26:27], -v[101:102]
	v_fma_f64 v[101:102], v[95:96], s[0:1], v[99:100]
	v_fma_f64 v[95:96], v[95:96], s[0:1], -v[99:100]
	v_mul_f64 v[99:100], v[93:94], s[0:1]
	v_add_f64 v[8:9], v[105:106], v[8:9]
	v_mul_f64 v[105:106], v[91:92], s[10:11]
	v_add_f64 v[48:49], v[112:113], v[48:49]
	;; [unrolled: 2-line block ×3, first 2 shown]
	v_add_f64 v[66:67], v[101:102], v[66:67]
	v_mul_f64 v[101:102], v[93:94], s[6:7]
	v_fma_f64 v[97:98], v[89:90], s[42:43], v[99:100]
	v_add_f64 v[10:11], v[107:108], v[10:11]
	v_fma_f64 v[107:108], v[87:88], s[0:1], v[105:106]
	v_fma_f64 v[99:100], v[89:90], s[10:11], v[99:100]
	v_add_f64 v[6:7], v[60:61], v[6:7]
	v_fma_f64 v[60:61], v[87:88], s[0:1], -v[105:106]
	v_add_f64 v[1:2], v[95:96], v[1:2]
	v_fma_f64 v[95:96], v[89:90], s[16:17], v[101:102]
	v_add_f64 v[16:17], v[97:98], v[16:17]
	v_fma_f64 v[97:98], v[87:88], s[6:7], v[112:113]
	v_add_f64 v[46:47], v[107:108], v[46:47]
	v_add_f64 v[18:19], v[99:100], v[18:19]
	v_mul_f64 v[99:100], v[93:94], s[26:27]
	v_add_f64 v[34:35], v[60:61], v[34:35]
	v_mul_f64 v[60:61], v[91:92], s[30:31]
	v_fma_f64 v[101:102], v[89:90], s[44:45], v[101:102]
	v_add_f64 v[24:25], v[95:96], v[24:25]
	v_fma_f64 v[95:96], v[87:88], s[6:7], -v[112:113]
	v_add_f64 v[50:51], v[97:98], v[50:51]
	v_mul_f64 v[97:98], v[93:94], s[4:5]
	v_mul_f64 v[107:108], v[91:92], s[38:39]
	v_fma_f64 v[105:106], v[89:90], s[36:37], v[99:100]
	v_fma_f64 v[112:113], v[87:88], s[26:27], v[60:61]
	v_add_f64 v[20:21], v[101:102], v[20:21]
	v_fma_f64 v[99:100], v[89:90], s[30:31], v[99:100]
	v_add_f64 v[40:41], v[95:96], v[40:41]
	v_fma_f64 v[60:61], v[87:88], s[26:27], -v[60:61]
	v_fma_f64 v[95:96], v[89:90], s[46:47], v[97:98]
	v_fma_f64 v[101:102], v[87:88], s[4:5], v[107:108]
	v_add_f64 v[36:37], v[105:106], v[36:37]
	v_mul_f64 v[105:106], v[93:94], s[14:15]
	v_add_f64 v[62:63], v[112:113], v[62:63]
	v_add_f64 v[22:23], v[99:100], v[22:23]
	v_mul_f64 v[99:100], v[91:92], s[50:51]
	v_add_f64 v[42:43], v[60:61], v[42:43]
	v_add_f64 v[12:13], v[95:96], v[12:13]
	v_fma_f64 v[60:61], v[89:90], s[38:39], v[97:98]
	v_add_f64 v[54:55], v[101:102], v[54:55]
	v_fma_f64 v[95:96], v[87:88], s[4:5], -v[107:108]
	v_mul_f64 v[101:102], v[93:94], s[22:23]
	v_fma_f64 v[97:98], v[89:90], s[20:21], v[105:106]
	v_fma_f64 v[107:108], v[87:88], s[14:15], v[99:100]
	v_mul_f64 v[112:113], v[91:92], s[28:29]
	v_add_f64 v[28:29], v[118:119], v[28:29]
	v_add_f64 v[14:15], v[60:61], v[14:15]
	v_fma_f64 v[60:61], v[87:88], s[14:15], -v[99:100]
	v_add_f64 v[58:59], v[95:96], v[58:59]
	v_fma_f64 v[95:96], v[89:90], s[54:55], v[101:102]
	v_fma_f64 v[105:106], v[89:90], s[50:51], v[105:106]
	v_add_f64 v[26:27], v[97:98], v[26:27]
	v_add_f64 v[97:98], v[107:108], v[103:104]
	v_fma_f64 v[101:102], v[89:90], s[28:29], v[101:102]
	v_mul_f64 v[103:104], v[93:94], s[34:35]
	v_add_f64 v[44:45], v[60:61], v[44:45]
	v_fma_f64 v[60:61], v[87:88], s[22:23], -v[112:113]
	v_add_f64 v[38:39], v[95:96], v[38:39]
	v_mul_f64 v[93:94], v[93:94], s[18:19]
	v_mul_f64 v[95:96], v[91:92], s[40:41]
	;; [unrolled: 1-line block ×3, first 2 shown]
	v_add_f64 v[28:29], v[105:106], v[28:29]
	v_add_f64 v[30:31], v[101:102], v[30:31]
	v_fma_f64 v[101:102], v[89:90], s[40:41], v[103:104]
	v_add_f64 v[52:53], v[60:61], v[52:53]
	v_fma_f64 v[60:61], v[89:90], s[48:49], v[103:104]
	v_fma_f64 v[103:104], v[89:90], s[24:25], v[93:94]
	;; [unrolled: 1-line block ×4, first 2 shown]
	v_fma_f64 v[93:94], v[87:88], s[34:35], -v[95:96]
	v_fma_f64 v[95:96], v[87:88], s[18:19], v[91:92]
	v_fma_f64 v[99:100], v[87:88], s[22:23], v[112:113]
	v_fma_f64 v[87:88], v[87:88], s[18:19], -v[91:92]
	v_mul_f64 v[91:92], v[85:86], s[4:5]
	v_add_f64 v[8:9], v[60:61], v[8:9]
	v_mul_f64 v[60:61], v[83:84], s[38:39]
	v_add_f64 v[48:49], v[103:104], v[48:49]
	;; [unrolled: 2-line block ×4, first 2 shown]
	v_add_f64 v[64:65], v[93:94], v[64:65]
	v_fma_f64 v[93:94], v[81:82], s[46:47], v[91:92]
	v_fma_f64 v[101:102], v[79:80], s[4:5], v[60:61]
	;; [unrolled: 1-line block ×3, first 2 shown]
	v_add_f64 v[6:7], v[89:90], v[6:7]
	v_fma_f64 v[60:61], v[79:80], s[4:5], -v[60:61]
	v_add_f64 v[1:2], v[87:88], v[1:2]
	v_fma_f64 v[87:88], v[81:82], s[24:25], v[95:96]
	v_fma_f64 v[89:90], v[79:80], s[18:19], v[103:104]
	v_add_f64 v[16:17], v[93:94], v[16:17]
	v_add_f64 v[46:47], v[101:102], v[46:47]
	;; [unrolled: 1-line block ×3, first 2 shown]
	v_mul_f64 v[91:92], v[85:86], s[14:15]
	v_add_f64 v[34:35], v[60:61], v[34:35]
	v_mul_f64 v[60:61], v[83:84], s[20:21]
	v_fma_f64 v[93:94], v[81:82], s[52:53], v[95:96]
	v_add_f64 v[24:25], v[87:88], v[24:25]
	v_fma_f64 v[87:88], v[79:80], s[18:19], -v[103:104]
	v_add_f64 v[50:51], v[89:90], v[50:51]
	v_mul_f64 v[89:90], v[85:86], s[0:1]
	v_mul_f64 v[101:102], v[83:84], s[42:43]
	v_fma_f64 v[95:96], v[81:82], s[50:51], v[91:92]
	v_fma_f64 v[103:104], v[79:80], s[14:15], v[60:61]
	v_add_f64 v[20:21], v[93:94], v[20:21]
	v_fma_f64 v[91:92], v[81:82], s[20:21], v[91:92]
	v_add_f64 v[40:41], v[87:88], v[40:41]
	v_fma_f64 v[60:61], v[79:80], s[14:15], -v[60:61]
	v_fma_f64 v[87:88], v[81:82], s[10:11], v[89:90]
	v_fma_f64 v[93:94], v[79:80], s[0:1], v[101:102]
	v_add_f64 v[36:37], v[95:96], v[36:37]
	v_mul_f64 v[95:96], v[85:86], s[26:27]
	v_add_f64 v[62:63], v[103:104], v[62:63]
	v_add_f64 v[22:23], v[91:92], v[22:23]
	v_mul_f64 v[91:92], v[83:84], s[30:31]
	v_add_f64 v[42:43], v[60:61], v[42:43]
	v_add_f64 v[12:13], v[87:88], v[12:13]
	v_fma_f64 v[60:61], v[81:82], s[42:43], v[89:90]
	v_add_f64 v[54:55], v[93:94], v[54:55]
	v_fma_f64 v[87:88], v[79:80], s[0:1], -v[101:102]
	v_mul_f64 v[93:94], v[85:86], s[34:35]
	v_fma_f64 v[89:90], v[81:82], s[36:37], v[95:96]
	v_fma_f64 v[95:96], v[81:82], s[30:31], v[95:96]
	v_mul_f64 v[103:104], v[83:84], s[40:41]
	v_add_f64 v[99:100], v[99:100], v[110:111]
	v_add_f64 v[14:15], v[60:61], v[14:15]
	v_fma_f64 v[60:61], v[79:80], s[26:27], -v[91:92]
	v_add_f64 v[58:59], v[87:88], v[58:59]
	v_fma_f64 v[87:88], v[81:82], s[48:49], v[93:94]
	v_fma_f64 v[101:102], v[79:80], s[26:27], v[91:92]
	v_add_f64 v[28:29], v[95:96], v[28:29]
	v_fma_f64 v[91:92], v[79:80], s[34:35], v[103:104]
	v_fma_f64 v[93:94], v[81:82], s[40:41], v[93:94]
	v_mul_f64 v[95:96], v[85:86], s[22:23]
	v_add_f64 v[44:45], v[60:61], v[44:45]
	v_fma_f64 v[60:61], v[79:80], s[34:35], -v[103:104]
	v_add_f64 v[38:39], v[87:88], v[38:39]
	v_mul_f64 v[85:86], v[85:86], s[6:7]
	v_mul_f64 v[87:88], v[83:84], s[54:55]
	;; [unrolled: 1-line block ×3, first 2 shown]
	v_add_f64 v[26:27], v[89:90], v[26:27]
	v_add_f64 v[89:90], v[101:102], v[97:98]
	v_add_f64 v[91:92], v[91:92], v[99:100]
	v_add_f64 v[30:31], v[93:94], v[30:31]
	v_add_f64 v[52:53], v[60:61], v[52:53]
	v_fma_f64 v[60:61], v[81:82], s[28:29], v[95:96]
	v_fma_f64 v[93:94], v[81:82], s[54:55], v[95:96]
	;; [unrolled: 1-line block ×5, first 2 shown]
	v_fma_f64 v[85:86], v[79:80], s[22:23], -v[87:88]
	v_fma_f64 v[87:88], v[79:80], s[6:7], v[83:84]
	v_fma_f64 v[79:80], v[79:80], s[6:7], -v[83:84]
	v_mul_f64 v[83:84], v[75:76], s[34:35]
	v_mul_f64 v[99:100], v[77:78], s[40:41]
	v_add_f64 v[8:9], v[60:61], v[8:9]
	v_add_f64 v[10:11], v[93:94], v[10:11]
	;; [unrolled: 1-line block ×5, first 2 shown]
	v_mul_f64 v[87:88], v[75:76], s[26:27]
	v_fma_f64 v[66:67], v[73:74], s[48:49], v[83:84]
	v_fma_f64 v[85:86], v[71:72], s[34:35], v[99:100]
	v_mul_f64 v[81:82], v[77:78], s[36:37]
	v_fma_f64 v[83:84], v[73:74], s[40:41], v[83:84]
	v_fma_f64 v[93:94], v[71:72], s[34:35], -v[99:100]
	v_add_f64 v[1:2], v[79:80], v[1:2]
	v_mul_f64 v[79:80], v[75:76], s[4:5]
	v_add_f64 v[48:49], v[95:96], v[48:49]
	v_add_f64 v[16:17], v[66:67], v[16:17]
	;; [unrolled: 1-line block ×3, first 2 shown]
	v_fma_f64 v[66:67], v[73:74], s[30:31], v[87:88]
	v_fma_f64 v[85:86], v[71:72], s[26:27], v[81:82]
	v_add_f64 v[18:19], v[83:84], v[18:19]
	v_add_f64 v[83:84], v[93:94], v[34:35]
	v_mul_f64 v[34:35], v[77:78], s[38:39]
	v_fma_f64 v[87:88], v[73:74], s[36:37], v[87:88]
	v_fma_f64 v[81:82], v[71:72], s[26:27], -v[81:82]
	v_mul_f64 v[93:94], v[77:78], s[54:55]
	v_add_f64 v[24:25], v[66:67], v[24:25]
	v_fma_f64 v[66:67], v[73:74], s[46:47], v[79:80]
	v_add_f64 v[50:51], v[85:86], v[50:51]
	v_mul_f64 v[85:86], v[75:76], s[22:23]
	v_fma_f64 v[95:96], v[71:72], s[4:5], v[34:35]
	v_fma_f64 v[79:80], v[73:74], s[38:39], v[79:80]
	v_add_f64 v[20:21], v[87:88], v[20:21]
	v_add_f64 v[40:41], v[81:82], v[40:41]
	v_fma_f64 v[34:35], v[71:72], s[4:5], -v[34:35]
	v_add_f64 v[36:37], v[66:67], v[36:37]
	v_fma_f64 v[81:82], v[71:72], s[22:23], v[93:94]
	v_fma_f64 v[66:67], v[73:74], s[28:29], v[85:86]
	v_add_f64 v[62:63], v[95:96], v[62:63]
	v_mul_f64 v[87:88], v[75:76], s[0:1]
	v_mul_f64 v[95:96], v[77:78], s[10:11]
	v_add_f64 v[22:23], v[79:80], v[22:23]
	v_fma_f64 v[79:80], v[73:74], s[54:55], v[85:86]
	v_add_f64 v[42:43], v[34:35], v[42:43]
	v_add_f64 v[54:55], v[81:82], v[54:55]
	;; [unrolled: 1-line block ×3, first 2 shown]
	v_fma_f64 v[34:35], v[71:72], s[22:23], -v[93:94]
	v_fma_f64 v[66:67], v[73:74], s[42:43], v[87:88]
	v_fma_f64 v[81:82], v[71:72], s[0:1], v[95:96]
	v_mul_f64 v[85:86], v[75:76], s[18:19]
	v_add_f64 v[56:57], v[114:115], v[56:57]
	v_add_f64 v[14:15], v[79:80], v[14:15]
	v_mul_f64 v[79:80], v[77:78], s[52:53]
	v_fma_f64 v[87:88], v[73:74], s[10:11], v[87:88]
	v_fma_f64 v[93:94], v[71:72], s[0:1], -v[95:96]
	v_add_f64 v[58:59], v[34:35], v[58:59]
	v_add_f64 v[26:27], v[66:67], v[26:27]
	;; [unrolled: 1-line block ×3, first 2 shown]
	v_fma_f64 v[34:35], v[73:74], s[24:25], v[85:86]
	v_mul_f64 v[81:82], v[75:76], s[6:7]
	v_add_f64 v[56:57], v[105:106], v[56:57]
	v_fma_f64 v[89:90], v[71:72], s[18:19], v[79:80]
	v_add_f64 v[28:29], v[87:88], v[28:29]
	v_add_f64 v[87:88], v[93:94], v[44:45]
	v_fma_f64 v[44:45], v[73:74], s[52:53], v[85:86]
	v_fma_f64 v[79:80], v[71:72], s[18:19], -v[79:80]
	v_mul_f64 v[85:86], v[77:78], s[16:17]
	v_mul_f64 v[75:76], v[75:76], s[14:15]
	v_add_f64 v[34:35], v[34:35], v[38:39]
	v_fma_f64 v[38:39], v[73:74], s[44:45], v[81:82]
	v_mul_f64 v[77:78], v[77:78], s[50:51]
	v_add_f64 v[56:57], v[97:98], v[56:57]
	v_add_f64 v[30:31], v[44:45], v[30:31]
	;; [unrolled: 1-line block ×3, first 2 shown]
	v_fma_f64 v[44:45], v[71:72], s[6:7], v[85:86]
	v_fma_f64 v[79:80], v[73:74], s[16:17], v[81:82]
	;; [unrolled: 1-line block ×4, first 2 shown]
	v_add_f64 v[8:9], v[38:39], v[8:9]
	v_fma_f64 v[38:39], v[71:72], s[6:7], -v[85:86]
	v_fma_f64 v[85:86], v[71:72], s[14:15], v[77:78]
	v_fma_f64 v[70:71], v[71:72], s[14:15], -v[77:78]
	v_add_f64 v[56:57], v[44:45], v[56:57]
	v_mul_u32_u24_e32 v0, 0x121, v0
	v_add_f64 v[44:45], v[81:82], v[48:49]
	v_add_f64 v[6:7], v[73:74], v[6:7]
	;; [unrolled: 1-line block ×3, first 2 shown]
	v_lshlrev_b32_e32 v0, 3, v0
	v_add_f64 v[38:39], v[38:39], v[60:61]
	v_add_f64 v[60:61], v[70:71], v[1:2]
	v_add_u32_e32 v1, 0, v0
	s_movk_i32 s33, 0x88
	v_add_f64 v[48:49], v[85:86], v[64:65]
	v_mad_u32_u24 v64, v109, s33, v1
	v_lshlrev_b32_e32 v2, 3, v109
	ds_write2_b64 v64, v[4:5], v[16:17] offset1:1
	ds_write2_b64 v64, v[24:25], v[36:37] offset0:2 offset1:3
	ds_write2_b64 v64, v[12:13], v[26:27] offset0:4 offset1:5
	;; [unrolled: 1-line block ×7, first 2 shown]
	ds_write_b64 v64, v[18:19] offset:128
	v_add_u32_e32 v34, v1, v2
	v_add3_u32 v35, 0, v2, v0
	s_waitcnt lgkmcnt(0)
	s_barrier
	ds_read_b64 v[44:45], v34
	ds_read2_b64 v[0:3], v35 offset0:17 offset1:34
	ds_read2_b64 v[8:11], v35 offset0:51 offset1:68
	;; [unrolled: 1-line block ×7, first 2 shown]
	v_add_u32_e32 v36, 0x400, v35
	v_add_f64 v[89:90], v[89:90], v[91:92]
	ds_read2_b64 v[4:7], v36 offset0:127 offset1:144
	s_waitcnt lgkmcnt(0)
	s_barrier
	ds_write2_b64 v64, v[32:33], v[46:47] offset1:1
	ds_write2_b64 v64, v[50:51], v[62:63] offset0:2 offset1:3
	ds_write2_b64 v64, v[54:55], v[66:67] offset0:4 offset1:5
	;; [unrolled: 1-line block ×7, first 2 shown]
	ds_write_b64 v64, v[83:84] offset:128
	s_waitcnt lgkmcnt(0)
	s_barrier
	s_and_saveexec_b64 s[56:57], vcc
	s_cbranch_execz .LBB0_12
; %bb.11:
	v_lshlrev_b32_e32 v32, 4, v109
	v_mov_b32_e32 v33, 0
	v_lshlrev_b64 v[32:33], 4, v[32:33]
	v_mov_b32_e32 v37, s9
	v_add_co_u32_e32 v32, vcc, s8, v32
	v_addc_co_u32_e32 v33, vcc, v37, v33, vcc
	global_load_dwordx4 v[37:40], v[32:33], off offset:112
	global_load_dwordx4 v[48:51], v[32:33], off offset:128
	;; [unrolled: 1-line block ×14, first 2 shown]
	global_load_dwordx4 v[130:133], v[32:33], off
	global_load_dwordx4 v[134:137], v[32:33], off offset:240
	ds_read2_b64 v[70:73], v35 offset0:119 offset1:136
	ds_read2_b64 v[74:77], v35 offset0:153 offset1:170
	;; [unrolled: 1-line block ×8, first 2 shown]
	ds_read_b64 v[46:47], v34
	s_waitcnt vmcnt(15)
	v_mul_f64 v[32:33], v[26:27], v[39:40]
	s_waitcnt vmcnt(14)
	v_mul_f64 v[34:35], v[28:29], v[50:51]
	s_waitcnt lgkmcnt(7)
	v_mul_f64 v[41:42], v[74:75], v[50:51]
	s_waitcnt vmcnt(12)
	v_mul_f64 v[78:79], v[30:31], v[58:59]
	v_mul_f64 v[58:59], v[76:77], v[58:59]
	;; [unrolled: 1-line block ×4, first 2 shown]
	s_waitcnt vmcnt(11)
	v_mul_f64 v[100:101], v[18:19], v[62:63]
	s_waitcnt vmcnt(9)
	v_mul_f64 v[128:129], v[16:17], v[84:85]
	;; [unrolled: 2-line block ×3, first 2 shown]
	s_waitcnt lgkmcnt(6)
	v_mul_f64 v[160:161], v[118:119], v[84:85]
	s_waitcnt vmcnt(4)
	v_mul_f64 v[174:175], v[14:15], v[112:113]
	s_waitcnt lgkmcnt(4)
	v_mul_f64 v[176:177], v[142:143], v[108:109]
	s_waitcnt lgkmcnt(3)
	v_mul_f64 v[112:113], v[148:149], v[112:113]
	s_waitcnt vmcnt(1)
	v_mul_f64 v[187:188], v[0:1], v[132:133]
	s_waitcnt vmcnt(0)
	v_mul_f64 v[189:190], v[6:7], v[136:137]
	v_mul_f64 v[179:180], v[2:3], v[116:117]
	;; [unrolled: 1-line block ×3, first 2 shown]
	s_waitcnt lgkmcnt(2)
	v_mul_f64 v[132:133], v[150:151], v[132:133]
	s_waitcnt lgkmcnt(1)
	v_mul_f64 v[136:137], v[156:157], v[136:137]
	v_fma_f64 v[84:85], v[74:75], v[48:49], v[34:35]
	v_fma_f64 v[80:81], v[28:29], v[48:49], -v[41:42]
	v_fma_f64 v[78:79], v[76:77], v[56:57], v[78:79]
	v_fma_f64 v[76:77], v[30:31], v[56:57], -v[58:59]
	v_fma_f64 v[58:59], v[148:149], v[110:111], v[174:175]
	v_fma_f64 v[148:149], v[150:151], v[130:131], v[187:188]
	v_fma_f64 v[48:49], v[156:157], v[134:135], v[189:190]
	v_mul_f64 v[122:123], v[20:21], v[66:67]
	v_mul_f64 v[62:63], v[120:121], v[62:63]
	;; [unrolled: 1-line block ×6, first 2 shown]
	v_fma_f64 v[94:95], v[70:71], v[52:53], v[50:51]
	v_fma_f64 v[92:93], v[24:25], v[52:53], -v[54:55]
	v_fma_f64 v[100:101], v[120:121], v[60:61], v[100:101]
	v_fma_f64 v[70:71], v[140:141], v[90:91], v[158:159]
	v_fma_f64 v[120:121], v[8:9], v[106:107], -v[176:177]
	v_fma_f64 v[126:127], v[152:153], v[114:115], v[179:180]
	v_fma_f64 v[54:55], v[154:155], v[124:125], v[181:182]
	v_fma_f64 v[140:141], v[0:1], v[130:131], -v[132:133]
	v_fma_f64 v[50:51], v[6:7], v[134:135], -v[136:137]
	v_add_f64 v[176:177], v[148:149], v[48:49]
	v_mul_f64 v[164:165], v[10:11], v[98:99]
	v_mul_f64 v[166:167], v[12:13], v[104:105]
	v_fma_f64 v[74:75], v[138:139], v[64:65], v[122:123]
	v_fma_f64 v[108:109], v[118:119], v[82:83], v[128:129]
	;; [unrolled: 1-line block ×3, first 2 shown]
	v_fma_f64 v[128:129], v[2:3], v[114:115], -v[183:184]
	v_fma_f64 v[52:53], v[4:5], v[124:125], -v[185:186]
	v_add_f64 v[174:175], v[126:127], v[54:55]
	v_add_f64 v[114:115], v[140:141], -v[50:51]
	v_mul_f64 v[0:1], v[176:177], s[34:35]
	v_mul_f64 v[168:169], v[144:145], v[98:99]
	v_mul_f64 v[170:171], v[146:147], v[104:105]
	v_fma_f64 v[98:99], v[18:19], v[60:61], -v[62:63]
	v_fma_f64 v[118:119], v[144:145], v[96:97], v[164:165]
	v_fma_f64 v[62:63], v[146:147], v[102:103], v[166:167]
	v_fma_f64 v[56:57], v[14:15], v[110:111], -v[112:113]
	v_add_f64 v[172:173], v[122:123], v[58:59]
	v_add_f64 v[110:111], v[128:129], -v[52:53]
	v_mul_f64 v[2:3], v[174:175], s[26:27]
	v_fma_f64 v[4:5], v[114:115], s[48:49], v[0:1]
	v_add_f64 v[158:159], v[148:149], -v[48:49]
	v_mul_f64 v[66:67], v[138:139], v[66:67]
	v_fma_f64 v[116:117], v[10:11], v[96:97], -v[168:169]
	v_fma_f64 v[60:61], v[12:13], v[102:103], -v[170:171]
	v_add_f64 v[170:171], v[118:119], v[62:63]
	v_add_f64 v[106:107], v[120:121], -v[56:57]
	v_mul_f64 v[6:7], v[172:173], s[4:5]
	v_fma_f64 v[8:9], v[110:111], s[30:31], v[2:3]
	s_waitcnt lgkmcnt(0)
	v_add_f64 v[4:5], v[46:47], v[4:5]
	v_add_f64 v[156:157], v[126:127], -v[54:55]
	v_add_f64 v[152:153], v[140:141], v[50:51]
	v_mul_f64 v[12:13], v[158:159], s[40:41]
	v_mul_f64 v[39:40], v[72:73], v[39:40]
	v_fma_f64 v[88:89], v[72:73], v[37:38], v[32:33]
	v_fma_f64 v[72:73], v[20:21], v[64:65], -v[66:67]
	v_fma_f64 v[104:105], v[16:17], v[82:83], -v[160:161]
	;; [unrolled: 1-line block ×3, first 2 shown]
	v_add_f64 v[168:169], v[108:109], v[70:71]
	v_add_f64 v[102:103], v[116:117], -v[60:61]
	v_mul_f64 v[10:11], v[170:171], s[22:23]
	v_fma_f64 v[14:15], v[106:107], s[46:47], v[6:7]
	v_add_f64 v[4:5], v[8:9], v[4:5]
	v_add_f64 v[160:161], v[122:123], -v[58:59]
	v_add_f64 v[150:151], v[128:129], v[52:53]
	v_mul_f64 v[16:17], v[156:157], s[36:37]
	v_fma_f64 v[20:21], v[152:153], s[34:35], v[12:13]
	v_fma_f64 v[86:87], v[26:27], v[37:38], -v[39:40]
	v_add_f64 v[144:145], v[100:101], v[74:75]
	v_add_f64 v[96:97], v[104:105], -v[64:65]
	v_add_f64 v[154:155], v[118:119], -v[62:63]
	v_add_f64 v[146:147], v[120:121], v[56:57]
	v_mul_f64 v[8:9], v[168:169], s[0:1]
	v_fma_f64 v[18:19], v[102:103], s[28:29], v[10:11]
	v_add_f64 v[4:5], v[14:15], v[4:5]
	v_mul_f64 v[26:27], v[160:161], s[38:39]
	v_fma_f64 v[30:31], v[150:151], s[26:27], v[16:17]
	v_add_f64 v[20:21], v[44:45], v[20:21]
	v_fma_f64 v[0:1], v[114:115], s[40:41], v[0:1]
	v_add_f64 v[90:91], v[98:99], -v[72:73]
	v_add_f64 v[142:143], v[108:109], -v[70:71]
	v_add_f64 v[132:133], v[116:117], v[60:61]
	v_mul_f64 v[24:25], v[144:145], s[18:19]
	v_fma_f64 v[28:29], v[96:97], s[42:43], v[8:9]
	v_add_f64 v[4:5], v[18:19], v[4:5]
	v_mul_f64 v[32:33], v[154:155], s[54:55]
	v_fma_f64 v[36:37], v[146:147], s[4:5], v[26:27]
	v_fma_f64 v[12:13], v[152:153], s[34:35], -v[12:13]
	v_add_f64 v[20:21], v[30:31], v[20:21]
	v_fma_f64 v[2:3], v[110:111], s[36:37], v[2:3]
	v_add_f64 v[0:1], v[46:47], v[0:1]
	v_add_f64 v[134:135], v[94:95], v[78:79]
	v_add_f64 v[138:139], v[100:101], -v[74:75]
	v_add_f64 v[112:113], v[104:105], v[64:65]
	v_mul_f64 v[18:19], v[142:143], s[10:11]
	v_fma_f64 v[34:35], v[90:91], s[24:25], v[24:25]
	v_add_f64 v[4:5], v[28:29], v[4:5]
	v_fma_f64 v[30:31], v[132:133], s[22:23], v[32:33]
	v_fma_f64 v[16:17], v[150:151], s[26:27], -v[16:17]
	v_add_f64 v[12:13], v[44:45], v[12:13]
	v_add_f64 v[20:21], v[36:37], v[20:21]
	v_fma_f64 v[6:7], v[106:107], s[38:39], v[6:7]
	v_add_f64 v[0:1], v[2:3], v[0:1]
	v_add_f64 v[124:125], v[88:89], v[84:85]
	v_add_f64 v[82:83], v[92:93], -v[76:77]
	v_add_f64 v[136:137], v[94:95], -v[78:79]
	v_mul_f64 v[22:23], v[134:135], s[6:7]
	v_add_f64 v[4:5], v[34:35], v[4:5]
	v_add_f64 v[166:167], v[98:99], v[72:73]
	v_mul_f64 v[2:3], v[138:139], s[52:53]
	v_fma_f64 v[34:35], v[112:113], s[0:1], v[18:19]
	v_fma_f64 v[26:27], v[146:147], s[4:5], -v[26:27]
	v_add_f64 v[12:13], v[16:17], v[12:13]
	v_add_f64 v[16:17], v[30:31], v[20:21]
	v_fma_f64 v[10:11], v[102:103], s[54:55], v[10:11]
	v_add_f64 v[0:1], v[6:7], v[0:1]
	v_add_f64 v[66:67], v[86:87], -v[80:81]
	v_add_f64 v[130:131], v[88:89], -v[84:85]
	v_mul_f64 v[14:15], v[124:125], s[14:15]
	v_fma_f64 v[28:29], v[82:83], s[44:45], v[22:23]
	v_add_f64 v[164:165], v[92:93], v[76:77]
	v_mul_f64 v[6:7], v[136:137], s[16:17]
	v_fma_f64 v[20:21], v[166:167], s[18:19], v[2:3]
	v_fma_f64 v[30:31], v[132:133], s[22:23], -v[32:33]
	v_add_f64 v[12:13], v[26:27], v[12:13]
	v_add_f64 v[16:17], v[34:35], v[16:17]
	v_fma_f64 v[8:9], v[96:97], s[10:11], v[8:9]
	v_add_f64 v[0:1], v[10:11], v[0:1]
	v_add_f64 v[162:163], v[86:87], v[80:81]
	v_mul_f64 v[10:11], v[130:131], s[50:51]
	v_fma_f64 v[26:27], v[164:165], s[6:7], v[6:7]
	v_fma_f64 v[18:19], v[112:113], s[0:1], -v[18:19]
	v_add_f64 v[12:13], v[30:31], v[12:13]
	v_add_f64 v[16:17], v[20:21], v[16:17]
	;; [unrolled: 1-line block ×4, first 2 shown]
	v_fma_f64 v[8:9], v[66:67], s[20:21], v[14:15]
	v_fma_f64 v[20:21], v[90:91], s[52:53], v[24:25]
	;; [unrolled: 1-line block ×3, first 2 shown]
	v_fma_f64 v[28:29], v[166:167], s[18:19], -v[2:3]
	v_add_f64 v[12:13], v[18:19], v[12:13]
	v_add_f64 v[16:17], v[26:27], v[16:17]
	v_fma_f64 v[18:19], v[82:83], s[16:17], v[22:23]
	v_mul_f64 v[22:23], v[174:175], s[18:19]
	v_add_f64 v[2:3], v[8:9], v[4:5]
	v_fma_f64 v[8:9], v[66:67], s[50:51], v[14:15]
	v_mul_f64 v[14:15], v[176:177], s[4:5]
	v_add_f64 v[20:21], v[20:21], v[0:1]
	v_fma_f64 v[4:5], v[164:165], s[6:7], -v[6:7]
	v_add_f64 v[6:7], v[28:29], v[12:13]
	v_add_f64 v[0:1], v[24:25], v[16:17]
	v_mul_f64 v[36:37], v[172:173], s[14:15]
	v_fma_f64 v[38:39], v[110:111], s[24:25], v[22:23]
	v_mul_f64 v[32:33], v[156:157], s[52:53]
	v_fma_f64 v[24:25], v[114:115], s[46:47], v[14:15]
	;; [unrolled: 2-line block ×3, first 2 shown]
	v_add_f64 v[4:5], v[4:5], v[6:7]
	v_mul_f64 v[6:7], v[158:159], s[38:39]
	v_fma_f64 v[183:184], v[106:107], s[50:51], v[36:37]
	v_mul_f64 v[28:29], v[168:169], s[26:27]
	v_mul_f64 v[179:180], v[160:161], s[20:21]
	v_add_f64 v[24:25], v[46:47], v[24:25]
	v_fma_f64 v[181:182], v[150:151], s[18:19], v[32:33]
	v_fma_f64 v[22:23], v[110:111], s[52:53], v[22:23]
	v_add_f64 v[14:15], v[46:47], v[14:15]
	v_fma_f64 v[34:35], v[152:153], s[4:5], v[6:7]
	v_fma_f64 v[6:7], v[152:153], s[4:5], -v[6:7]
	v_fma_f64 v[32:33], v[150:151], s[18:19], -v[32:33]
	v_add_f64 v[12:13], v[18:19], v[20:21]
	v_add_f64 v[24:25], v[38:39], v[24:25]
	v_fma_f64 v[38:39], v[102:103], s[10:11], v[40:41]
	v_fma_f64 v[18:19], v[162:163], s[14:15], -v[10:11]
	v_mul_f64 v[10:11], v[144:145], s[34:35]
	v_add_f64 v[34:35], v[44:45], v[34:35]
	v_add_f64 v[6:7], v[44:45], v[6:7]
	v_fma_f64 v[42:43], v[96:97], s[36:37], v[28:29]
	v_mul_f64 v[185:186], v[154:155], s[42:43]
	v_add_f64 v[24:25], v[183:184], v[24:25]
	v_fma_f64 v[187:188], v[146:147], s[14:15], v[179:180]
	v_fma_f64 v[36:37], v[106:107], s[20:21], v[36:37]
	v_add_f64 v[14:15], v[22:23], v[14:15]
	v_add_f64 v[34:35], v[181:182], v[34:35]
	;; [unrolled: 1-line block ×3, first 2 shown]
	v_fma_f64 v[30:31], v[90:91], s[48:49], v[10:11]
	v_mul_f64 v[181:182], v[142:143], s[30:31]
	v_add_f64 v[22:23], v[38:39], v[24:25]
	v_fma_f64 v[24:25], v[146:147], s[14:15], -v[179:180]
	v_fma_f64 v[183:184], v[132:133], s[0:1], v[185:186]
	v_fma_f64 v[40:41], v[102:103], s[42:43], v[40:41]
	v_add_f64 v[34:35], v[187:188], v[34:35]
	v_add_f64 v[14:15], v[36:37], v[14:15]
	v_fma_f64 v[36:37], v[132:133], s[0:1], -v[185:186]
	v_mul_f64 v[32:33], v[138:139], s[40:41]
	v_add_f64 v[22:23], v[42:43], v[22:23]
	v_add_f64 v[6:7], v[24:25], v[6:7]
	v_fma_f64 v[38:39], v[112:113], s[26:27], v[181:182]
	v_fma_f64 v[28:29], v[96:97], s[30:31], v[28:29]
	v_add_f64 v[34:35], v[183:184], v[34:35]
	v_add_f64 v[14:15], v[40:41], v[14:15]
	v_mul_f64 v[24:25], v[136:137], s[54:55]
	v_fma_f64 v[42:43], v[166:167], s[34:35], v[32:33]
	v_add_f64 v[22:23], v[30:31], v[22:23]
	v_fma_f64 v[30:31], v[112:113], s[26:27], -v[181:182]
	v_add_f64 v[6:7], v[36:37], v[6:7]
	v_fma_f64 v[10:11], v[90:91], s[40:41], v[10:11]
	v_add_f64 v[34:35], v[38:39], v[34:35]
	v_add_f64 v[14:15], v[28:29], v[14:15]
	v_fma_f64 v[32:33], v[166:167], s[34:35], -v[32:33]
	v_mul_f64 v[16:17], v[134:135], s[22:23]
	v_fma_f64 v[38:39], v[164:165], s[22:23], v[24:25]
	v_mul_f64 v[20:21], v[124:125], s[6:7]
	v_add_f64 v[6:7], v[30:31], v[6:7]
	v_mul_f64 v[36:37], v[130:131], s[16:17]
	v_add_f64 v[34:35], v[42:43], v[34:35]
	v_add_f64 v[14:15], v[10:11], v[14:15]
	;; [unrolled: 1-line block ×3, first 2 shown]
	v_fma_f64 v[12:13], v[164:165], s[22:23], -v[24:25]
	v_fma_f64 v[26:27], v[82:83], s[28:29], v[16:17]
	v_fma_f64 v[28:29], v[66:67], s[44:45], v[20:21]
	v_add_f64 v[24:25], v[32:33], v[6:7]
	v_add_f64 v[8:9], v[18:19], v[4:5]
	;; [unrolled: 1-line block ×3, first 2 shown]
	v_mul_f64 v[34:35], v[158:159], s[10:11]
	v_fma_f64 v[18:19], v[66:67], s[16:17], v[20:21]
	v_fma_f64 v[20:21], v[162:163], s[6:7], -v[36:37]
	v_add_f64 v[22:23], v[26:27], v[22:23]
	v_fma_f64 v[26:27], v[162:163], s[6:7], v[36:37]
	v_add_f64 v[12:13], v[12:13], v[24:25]
	v_mul_f64 v[24:25], v[176:177], s[0:1]
	v_mul_f64 v[36:37], v[174:175], s[6:7]
	;; [unrolled: 1-line block ×3, first 2 shown]
	v_fma_f64 v[185:186], v[152:153], s[0:1], v[34:35]
	v_mul_f64 v[42:43], v[172:173], s[26:27]
	v_fma_f64 v[34:35], v[152:153], s[0:1], -v[34:35]
	v_mul_f64 v[191:192], v[160:161], s[30:31]
	v_add_f64 v[4:5], v[26:27], v[30:31]
	v_fma_f64 v[40:41], v[114:115], s[42:43], v[24:25]
	v_fma_f64 v[187:188], v[110:111], s[16:17], v[36:37]
	;; [unrolled: 1-line block ×4, first 2 shown]
	v_add_f64 v[185:186], v[44:45], v[185:186]
	v_mul_f64 v[30:31], v[170:171], s[4:5]
	v_fma_f64 v[189:190], v[106:107], s[36:37], v[42:43]
	v_fma_f64 v[36:37], v[110:111], s[44:45], v[36:37]
	v_add_f64 v[40:41], v[46:47], v[40:41]
	v_fma_f64 v[183:184], v[150:151], s[6:7], -v[183:184]
	v_add_f64 v[24:25], v[46:47], v[24:25]
	v_add_f64 v[34:35], v[44:45], v[34:35]
	v_fma_f64 v[195:196], v[146:147], s[26:27], v[191:192]
	v_add_f64 v[185:186], v[193:194], v[185:186]
	v_add_f64 v[6:7], v[28:29], v[22:23]
	v_mul_f64 v[28:29], v[168:169], s[14:15]
	v_add_f64 v[40:41], v[187:188], v[40:41]
	v_mul_f64 v[187:188], v[154:155], s[38:39]
	v_fma_f64 v[181:182], v[102:103], s[46:47], v[30:31]
	v_fma_f64 v[42:43], v[106:107], s[30:31], v[42:43]
	v_add_f64 v[24:25], v[36:37], v[24:25]
	v_add_f64 v[34:35], v[183:184], v[34:35]
	v_mul_f64 v[183:184], v[142:143], s[50:51]
	v_add_f64 v[185:186], v[195:196], v[185:186]
	v_add_f64 v[36:37], v[189:190], v[40:41]
	v_fma_f64 v[40:41], v[146:147], s[26:27], -v[191:192]
	v_fma_f64 v[189:190], v[132:133], s[4:5], v[187:188]
	v_fma_f64 v[16:17], v[82:83], s[54:55], v[16:17]
	v_mul_f64 v[22:23], v[144:145], s[22:23]
	v_fma_f64 v[179:180], v[96:97], s[20:21], v[28:29]
	v_fma_f64 v[30:31], v[102:103], s[38:39], v[30:31]
	v_add_f64 v[24:25], v[42:43], v[24:25]
	v_add_f64 v[36:37], v[181:182], v[36:37]
	v_fma_f64 v[42:43], v[132:133], s[4:5], -v[187:188]
	v_add_f64 v[34:35], v[40:41], v[34:35]
	v_mul_f64 v[40:41], v[138:139], s[28:29]
	v_fma_f64 v[181:182], v[112:113], s[14:15], v[183:184]
	v_add_f64 v[185:186], v[189:190], v[185:186]
	v_add_f64 v[14:15], v[16:17], v[14:15]
	v_mul_f64 v[16:17], v[134:135], s[34:35]
	v_fma_f64 v[38:39], v[90:91], s[54:55], v[22:23]
	v_fma_f64 v[28:29], v[96:97], s[50:51], v[28:29]
	v_add_f64 v[24:25], v[30:31], v[24:25]
	v_add_f64 v[30:31], v[179:180], v[36:37]
	v_fma_f64 v[36:37], v[112:113], s[14:15], -v[183:184]
	v_add_f64 v[34:35], v[42:43], v[34:35]
	v_mul_f64 v[42:43], v[136:137], s[40:41]
	v_fma_f64 v[179:180], v[166:167], s[22:23], v[40:41]
	v_add_f64 v[181:182], v[181:182], v[185:186]
	v_mul_f64 v[26:27], v[124:125], s[18:19]
	v_fma_f64 v[32:33], v[82:83], s[48:49], v[16:17]
	v_fma_f64 v[22:23], v[90:91], s[28:29], v[22:23]
	v_add_f64 v[24:25], v[28:29], v[24:25]
	v_add_f64 v[28:29], v[38:39], v[30:31]
	v_fma_f64 v[30:31], v[166:167], s[22:23], -v[40:41]
	v_add_f64 v[34:35], v[36:37], v[34:35]
	v_mul_f64 v[36:37], v[130:131], s[52:53]
	v_fma_f64 v[38:39], v[164:165], s[34:35], v[42:43]
	v_add_f64 v[40:41], v[179:180], v[181:182]
	v_fma_f64 v[16:17], v[82:83], s[40:41], v[16:17]
	v_add_f64 v[22:23], v[22:23], v[24:25]
	v_fma_f64 v[24:25], v[66:67], s[24:25], v[26:27]
	v_fma_f64 v[42:43], v[164:165], s[34:35], -v[42:43]
	v_add_f64 v[30:31], v[30:31], v[34:35]
	v_add_f64 v[28:29], v[32:33], v[28:29]
	v_fma_f64 v[32:33], v[162:163], s[18:19], v[36:37]
	v_add_f64 v[34:35], v[38:39], v[40:41]
	v_add_f64 v[18:19], v[18:19], v[14:15]
	;; [unrolled: 1-line block ×3, first 2 shown]
	v_fma_f64 v[36:37], v[162:163], s[18:19], -v[36:37]
	v_add_f64 v[16:17], v[20:21], v[12:13]
	v_add_f64 v[30:31], v[42:43], v[30:31]
	;; [unrolled: 1-line block ×3, first 2 shown]
	v_mul_f64 v[24:25], v[176:177], s[6:7]
	v_add_f64 v[12:13], v[32:33], v[34:35]
	v_mul_f64 v[34:35], v[158:159], s[16:17]
	v_mul_f64 v[183:184], v[156:157], s[46:47]
	;; [unrolled: 1-line block ×4, first 2 shown]
	v_add_f64 v[20:21], v[36:37], v[30:31]
	v_mul_f64 v[30:31], v[174:175], s[4:5]
	v_fma_f64 v[36:37], v[114:115], s[44:45], v[24:25]
	v_fma_f64 v[24:25], v[114:115], s[16:17], v[24:25]
	;; [unrolled: 1-line block ×4, first 2 shown]
	v_mul_f64 v[189:190], v[170:171], s[18:19]
	v_fma_f64 v[191:192], v[106:107], s[28:29], v[179:180]
	v_fma_f64 v[34:35], v[152:153], s[6:7], -v[34:35]
	v_fma_f64 v[181:182], v[110:111], s[38:39], v[30:31]
	v_add_f64 v[36:37], v[46:47], v[36:37]
	v_fma_f64 v[30:31], v[110:111], s[46:47], v[30:31]
	v_add_f64 v[185:186], v[44:45], v[185:186]
	v_add_f64 v[24:25], v[46:47], v[24:25]
	v_mul_f64 v[197:198], v[154:155], s[24:25]
	v_fma_f64 v[199:200], v[146:147], s[22:23], v[193:194]
	v_mul_f64 v[38:39], v[168:169], s[34:35]
	v_fma_f64 v[179:180], v[106:107], s[54:55], v[179:180]
	v_add_f64 v[36:37], v[181:182], v[36:37]
	v_fma_f64 v[181:182], v[102:103], s[52:53], v[189:190]
	v_add_f64 v[185:186], v[195:196], v[185:186]
	v_add_f64 v[24:25], v[30:31], v[24:25]
	v_fma_f64 v[30:31], v[150:151], s[4:5], -v[183:184]
	v_add_f64 v[34:35], v[44:45], v[34:35]
	v_mul_f64 v[183:184], v[142:143], s[40:41]
	v_fma_f64 v[26:27], v[66:67], s[52:53], v[26:27]
	v_add_f64 v[36:37], v[191:192], v[36:37]
	v_fma_f64 v[191:192], v[132:133], s[18:19], v[197:198]
	v_add_f64 v[185:186], v[199:200], v[185:186]
	v_mul_f64 v[28:29], v[144:145], s[14:15]
	v_fma_f64 v[187:188], v[96:97], s[48:49], v[38:39]
	v_add_f64 v[24:25], v[179:180], v[24:25]
	v_fma_f64 v[179:180], v[146:147], s[22:23], -v[193:194]
	v_add_f64 v[30:31], v[30:31], v[34:35]
	v_add_f64 v[36:37], v[181:182], v[36:37]
	v_fma_f64 v[181:182], v[102:103], s[24:25], v[189:190]
	v_mul_f64 v[34:35], v[138:139], s[50:51]
	v_fma_f64 v[189:190], v[112:113], s[34:35], v[183:184]
	v_add_f64 v[185:186], v[191:192], v[185:186]
	v_add_f64 v[22:23], v[26:27], v[22:23]
	v_mul_f64 v[26:27], v[134:135], s[26:27]
	v_fma_f64 v[42:43], v[90:91], s[20:21], v[28:29]
	v_add_f64 v[36:37], v[187:188], v[36:37]
	v_fma_f64 v[38:39], v[96:97], s[40:41], v[38:39]
	v_add_f64 v[24:25], v[181:182], v[24:25]
	v_fma_f64 v[181:182], v[132:133], s[18:19], -v[197:198]
	v_add_f64 v[30:31], v[179:180], v[30:31]
	v_mul_f64 v[179:180], v[136:137], s[30:31]
	v_fma_f64 v[187:188], v[166:167], s[14:15], v[34:35]
	v_add_f64 v[185:186], v[189:190], v[185:186]
	v_fma_f64 v[40:41], v[82:83], s[36:37], v[26:27]
	v_add_f64 v[36:37], v[42:43], v[36:37]
	;; [unrolled: 2-line block ×3, first 2 shown]
	v_fma_f64 v[38:39], v[112:113], s[34:35], -v[183:184]
	v_add_f64 v[30:31], v[181:182], v[30:31]
	v_mul_f64 v[42:43], v[130:131], s[10:11]
	v_fma_f64 v[181:182], v[164:165], s[26:27], v[179:180]
	v_add_f64 v[183:184], v[187:188], v[185:186]
	v_mul_f64 v[32:33], v[124:125], s[0:1]
	v_fma_f64 v[26:27], v[82:83], s[30:31], v[26:27]
	v_add_f64 v[24:25], v[28:29], v[24:25]
	v_fma_f64 v[28:29], v[166:167], s[14:15], -v[34:35]
	v_add_f64 v[30:31], v[38:39], v[30:31]
	v_add_f64 v[34:35], v[40:41], v[36:37]
	v_fma_f64 v[36:37], v[162:163], s[0:1], v[42:43]
	v_add_f64 v[38:39], v[181:182], v[183:184]
	v_mul_f64 v[40:41], v[176:177], s[14:15]
	v_fma_f64 v[185:186], v[66:67], s[42:43], v[32:33]
	v_fma_f64 v[32:33], v[66:67], s[10:11], v[32:33]
	v_add_f64 v[181:182], v[26:27], v[24:25]
	v_fma_f64 v[179:180], v[164:165], s[26:27], -v[179:180]
	v_add_f64 v[28:29], v[28:29], v[30:31]
	v_mul_f64 v[30:31], v[174:175], s[34:35]
	v_add_f64 v[24:25], v[36:37], v[38:39]
	v_mul_f64 v[36:37], v[158:159], s[20:21]
	v_fma_f64 v[38:39], v[114:115], s[50:51], v[40:41]
	v_add_f64 v[26:27], v[185:186], v[34:35]
	v_add_f64 v[34:35], v[32:33], v[181:182]
	v_fma_f64 v[32:33], v[162:163], s[0:1], -v[42:43]
	v_add_f64 v[28:29], v[179:180], v[28:29]
	v_mul_f64 v[42:43], v[172:173], s[6:7]
	v_fma_f64 v[179:180], v[110:111], s[48:49], v[30:31]
	v_mul_f64 v[181:182], v[156:157], s[40:41]
	v_fma_f64 v[183:184], v[152:153], s[14:15], v[36:37]
	v_add_f64 v[38:39], v[46:47], v[38:39]
	v_mul_f64 v[189:190], v[170:171], s[26:27]
	v_mul_f64 v[193:194], v[160:161], s[44:45]
	v_fma_f64 v[40:41], v[114:115], s[20:21], v[40:41]
	v_fma_f64 v[191:192], v[106:107], s[16:17], v[42:43]
	v_mul_f64 v[197:198], v[168:169], s[18:19]
	v_fma_f64 v[195:196], v[150:151], s[34:35], v[181:182]
	v_add_f64 v[183:184], v[44:45], v[183:184]
	v_add_f64 v[38:39], v[179:180], v[38:39]
	v_fma_f64 v[199:200], v[102:103], s[30:31], v[189:190]
	v_mul_f64 v[201:202], v[154:155], s[36:37]
	v_fma_f64 v[203:204], v[146:147], s[6:7], v[193:194]
	v_fma_f64 v[30:31], v[110:111], s[40:41], v[30:31]
	v_add_f64 v[40:41], v[46:47], v[40:41]
	v_mul_f64 v[205:206], v[142:143], s[24:25]
	v_add_f64 v[183:184], v[195:196], v[183:184]
	v_add_f64 v[38:39], v[191:192], v[38:39]
	v_mul_f64 v[191:192], v[144:145], s[4:5]
	v_fma_f64 v[195:196], v[96:97], s[52:53], v[197:198]
	v_fma_f64 v[207:208], v[132:133], s[26:27], v[201:202]
	v_fma_f64 v[36:37], v[152:153], s[14:15], -v[36:37]
	v_fma_f64 v[42:43], v[106:107], s[44:45], v[42:43]
	v_add_f64 v[30:31], v[30:31], v[40:41]
	v_add_f64 v[183:184], v[203:204], v[183:184]
	;; [unrolled: 1-line block ×3, first 2 shown]
	v_mul_f64 v[185:186], v[134:135], s[0:1]
	v_fma_f64 v[199:200], v[90:91], s[46:47], v[191:192]
	v_mul_f64 v[40:41], v[138:139], s[38:39]
	v_fma_f64 v[203:204], v[112:113], s[18:19], v[205:206]
	v_fma_f64 v[181:182], v[150:151], s[34:35], -v[181:182]
	v_add_f64 v[36:37], v[44:45], v[36:37]
	v_add_f64 v[183:184], v[207:208], v[183:184]
	;; [unrolled: 1-line block ×3, first 2 shown]
	v_fma_f64 v[189:190], v[102:103], s[36:37], v[189:190]
	v_add_f64 v[30:31], v[42:43], v[30:31]
	v_mul_f64 v[187:188], v[124:125], s[22:23]
	v_fma_f64 v[179:180], v[82:83], s[10:11], v[185:186]
	v_mul_f64 v[42:43], v[136:137], s[42:43]
	v_fma_f64 v[195:196], v[166:167], s[4:5], v[40:41]
	v_add_f64 v[183:184], v[203:204], v[183:184]
	v_add_f64 v[38:39], v[199:200], v[38:39]
	v_fma_f64 v[193:194], v[146:147], s[6:7], -v[193:194]
	v_add_f64 v[36:37], v[181:182], v[36:37]
	v_fma_f64 v[181:182], v[96:97], s[24:25], v[197:198]
	v_add_f64 v[30:31], v[189:190], v[30:31]
	v_mul_f64 v[189:190], v[130:131], s[54:55]
	v_fma_f64 v[197:198], v[164:165], s[0:1], v[42:43]
	v_add_f64 v[183:184], v[195:196], v[183:184]
	v_fma_f64 v[195:196], v[66:67], s[28:29], v[187:188]
	v_fma_f64 v[199:200], v[132:133], s[26:27], -v[201:202]
	v_add_f64 v[36:37], v[193:194], v[36:37]
	v_fma_f64 v[191:192], v[90:91], s[38:39], v[191:192]
	v_add_f64 v[30:31], v[181:182], v[30:31]
	v_add_f64 v[38:39], v[179:180], v[38:39]
	v_fma_f64 v[179:180], v[162:163], s[22:23], v[189:190]
	v_add_f64 v[181:182], v[197:198], v[183:184]
	v_fma_f64 v[183:184], v[112:113], s[18:19], -v[205:206]
	v_fma_f64 v[185:186], v[82:83], s[42:43], v[185:186]
	v_add_f64 v[36:37], v[199:200], v[36:37]
	v_add_f64 v[32:33], v[32:33], v[28:29]
	;; [unrolled: 1-line block ×4, first 2 shown]
	v_mul_f64 v[38:39], v[176:177], s[18:19]
	v_add_f64 v[28:29], v[179:180], v[181:182]
	v_fma_f64 v[40:41], v[166:167], s[4:5], -v[40:41]
	v_mul_f64 v[179:180], v[158:159], s[24:25]
	v_add_f64 v[36:37], v[183:184], v[36:37]
	v_fma_f64 v[181:182], v[66:67], s[54:55], v[187:188]
	v_add_f64 v[183:184], v[185:186], v[191:192]
	v_mul_f64 v[185:186], v[174:175], s[0:1]
	v_fma_f64 v[187:188], v[114:115], s[52:53], v[38:39]
	v_mul_f64 v[191:192], v[156:157], s[10:11]
	v_fma_f64 v[38:39], v[114:115], s[24:25], v[38:39]
	v_fma_f64 v[193:194], v[152:153], s[18:19], v[179:180]
	v_add_f64 v[36:37], v[40:41], v[36:37]
	v_mul_f64 v[40:41], v[172:173], s[34:35]
	v_mul_f64 v[197:198], v[160:161], s[48:49]
	v_fma_f64 v[195:196], v[110:111], s[42:43], v[185:186]
	v_add_f64 v[187:188], v[46:47], v[187:188]
	v_fma_f64 v[199:200], v[150:151], s[0:1], v[191:192]
	v_fma_f64 v[185:186], v[110:111], s[10:11], v[185:186]
	v_add_f64 v[193:194], v[44:45], v[193:194]
	v_add_f64 v[38:39], v[46:47], v[38:39]
	v_mul_f64 v[201:202], v[170:171], s[6:7]
	v_fma_f64 v[203:204], v[106:107], s[40:41], v[40:41]
	v_fma_f64 v[205:206], v[146:147], s[34:35], v[197:198]
	v_add_f64 v[187:188], v[195:196], v[187:188]
	v_mul_f64 v[195:196], v[154:155], s[44:45]
	v_fma_f64 v[40:41], v[106:107], s[48:49], v[40:41]
	v_add_f64 v[193:194], v[199:200], v[193:194]
	v_add_f64 v[38:39], v[185:186], v[38:39]
	v_mul_f64 v[185:186], v[168:169], s[22:23]
	v_fma_f64 v[199:200], v[102:103], s[16:17], v[201:202]
	v_fma_f64 v[201:202], v[102:103], s[44:45], v[201:202]
	v_add_f64 v[187:188], v[203:204], v[187:188]
	v_mul_f64 v[203:204], v[142:143], s[54:55]
	;; [unrolled: 8-line block ×4, first 2 shown]
	v_fma_f64 v[211:212], v[166:167], s[26:27], v[199:200]
	v_add_f64 v[193:194], v[209:210], v[193:194]
	v_add_f64 v[38:39], v[185:186], v[38:39]
	v_mul_f64 v[185:186], v[124:125], s[4:5]
	v_fma_f64 v[209:210], v[82:83], s[50:51], v[201:202]
	v_fma_f64 v[42:43], v[164:165], s[0:1], -v[42:43]
	v_add_f64 v[187:188], v[207:208], v[187:188]
	v_mul_f64 v[207:208], v[130:131], s[38:39]
	v_fma_f64 v[213:214], v[164:165], s[14:15], v[205:206]
	v_add_f64 v[193:194], v[211:212], v[193:194]
	v_fma_f64 v[201:202], v[82:83], s[20:21], v[201:202]
	v_add_f64 v[38:39], v[40:41], v[38:39]
	v_fma_f64 v[40:41], v[162:163], s[22:23], -v[189:190]
	v_fma_f64 v[189:190], v[66:67], s[46:47], v[185:186]
	v_add_f64 v[187:188], v[209:210], v[187:188]
	v_add_f64 v[36:37], v[42:43], v[36:37]
	v_fma_f64 v[209:210], v[162:163], s[4:5], v[207:208]
	v_add_f64 v[193:194], v[213:214], v[193:194]
	v_fma_f64 v[185:186], v[66:67], s[38:39], v[185:186]
	v_add_f64 v[201:202], v[201:202], v[38:39]
	v_add_f64 v[42:43], v[181:182], v[183:184]
	v_mul_f64 v[183:184], v[176:177], s[22:23]
	v_add_f64 v[38:39], v[189:190], v[187:188]
	v_mul_f64 v[187:188], v[158:159], s[28:29]
	v_add_f64 v[40:41], v[40:41], v[36:37]
	v_fma_f64 v[179:180], v[152:153], s[18:19], -v[179:180]
	v_add_f64 v[36:37], v[209:210], v[193:194]
	v_add_f64 v[181:182], v[185:186], v[201:202]
	v_mul_f64 v[185:186], v[174:175], s[14:15]
	v_fma_f64 v[189:190], v[114:115], s[54:55], v[183:184]
	v_mul_f64 v[193:194], v[156:157], s[20:21]
	v_fma_f64 v[201:202], v[152:153], s[22:23], v[187:188]
	v_fma_f64 v[191:192], v[150:151], s[0:1], -v[191:192]
	v_add_f64 v[179:180], v[44:45], v[179:180]
	v_mul_f64 v[209:210], v[172:173], s[0:1]
	v_mul_f64 v[213:214], v[160:161], s[10:11]
	v_fma_f64 v[211:212], v[110:111], s[50:51], v[185:186]
	v_add_f64 v[189:190], v[46:47], v[189:190]
	v_fma_f64 v[215:216], v[150:151], s[14:15], v[193:194]
	v_add_f64 v[201:202], v[44:45], v[201:202]
	v_fma_f64 v[197:198], v[146:147], s[34:35], -v[197:198]
	v_add_f64 v[179:180], v[191:192], v[179:180]
	v_fma_f64 v[191:192], v[132:133], s[6:7], -v[195:196]
	v_mul_f64 v[195:196], v[170:171], s[34:35]
	v_fma_f64 v[217:218], v[106:107], s[42:43], v[209:210]
	v_add_f64 v[189:190], v[211:212], v[189:190]
	v_mul_f64 v[211:212], v[154:155], s[40:41]
	v_fma_f64 v[219:220], v[146:147], s[0:1], v[213:214]
	v_add_f64 v[201:202], v[215:216], v[201:202]
	v_add_f64 v[179:180], v[197:198], v[179:180]
	v_fma_f64 v[197:198], v[112:113], s[22:23], -v[203:204]
	v_mul_f64 v[203:204], v[168:169], s[4:5]
	v_fma_f64 v[215:216], v[102:103], s[48:49], v[195:196]
	v_add_f64 v[189:190], v[217:218], v[189:190]
	v_mul_f64 v[217:218], v[142:143], s[46:47]
	v_fma_f64 v[221:222], v[132:133], s[34:35], v[211:212]
	v_add_f64 v[201:202], v[219:220], v[201:202]
	v_mul_f64 v[176:177], v[176:177], s[26:27]
	v_fma_f64 v[183:184], v[114:115], s[28:29], v[183:184]
	v_fma_f64 v[219:220], v[96:97], s[38:39], v[203:204]
	v_fma_f64 v[187:188], v[152:153], s[22:23], -v[187:188]
	v_add_f64 v[189:190], v[215:216], v[189:190]
	v_mul_f64 v[215:216], v[138:139], s[44:45]
	v_fma_f64 v[223:224], v[112:113], s[4:5], v[217:218]
	v_add_f64 v[201:202], v[221:222], v[201:202]
	v_fma_f64 v[185:186], v[110:111], s[20:21], v[185:186]
	v_mul_f64 v[174:175], v[174:175], s[22:23]
	v_add_f64 v[183:184], v[46:47], v[183:184]
	v_add_f64 v[140:141], v[44:45], v[140:141]
	v_add_f64 v[189:190], v[219:220], v[189:190]
	v_mul_f64 v[219:220], v[136:137], s[52:53]
	v_fma_f64 v[225:226], v[166:167], s[6:7], v[215:216]
	v_add_f64 v[201:202], v[223:224], v[201:202]
	v_add_f64 v[148:149], v[46:47], v[148:149]
	;; [unrolled: 1-line block ×3, first 2 shown]
	v_fma_f64 v[191:192], v[166:167], s[26:27], -v[199:200]
	v_mul_f64 v[199:200], v[144:145], s[6:7]
	v_fma_f64 v[193:194], v[150:151], s[14:15], -v[193:194]
	v_fma_f64 v[227:228], v[164:165], s[18:19], v[219:220]
	v_add_f64 v[187:188], v[44:45], v[187:188]
	v_add_f64 v[201:202], v[225:226], v[201:202]
	v_fma_f64 v[225:226], v[114:115], s[36:37], v[176:177]
	v_fma_f64 v[209:210], v[106:107], s[10:11], v[209:210]
	v_mul_f64 v[172:173], v[172:173], s[18:19]
	v_add_f64 v[183:184], v[185:186], v[183:184]
	v_add_f64 v[128:129], v[128:129], v[140:141]
	;; [unrolled: 1-line block ×3, first 2 shown]
	v_fma_f64 v[221:222], v[90:91], s[16:17], v[199:200]
	v_add_f64 v[201:202], v[227:228], v[201:202]
	v_fma_f64 v[227:228], v[110:111], s[54:55], v[174:175]
	v_add_f64 v[225:226], v[46:47], v[225:226]
	v_fma_f64 v[185:186], v[90:91], s[44:45], v[199:200]
	v_fma_f64 v[199:200], v[146:147], s[0:1], -v[213:214]
	v_add_f64 v[187:188], v[193:194], v[187:188]
	v_fma_f64 v[193:194], v[102:103], s[40:41], v[195:196]
	v_mul_f64 v[170:171], v[170:171], s[14:15]
	v_fma_f64 v[195:196], v[106:107], s[52:53], v[172:173]
	v_add_f64 v[183:184], v[209:210], v[183:184]
	v_add_f64 v[213:214], v[227:228], v[225:226]
	;; [unrolled: 1-line block ×4, first 2 shown]
	v_fma_f64 v[203:204], v[96:97], s[46:47], v[203:204]
	v_fma_f64 v[209:210], v[132:133], s[34:35], -v[211:212]
	v_add_f64 v[187:188], v[199:200], v[187:188]
	v_mul_f64 v[168:169], v[168:169], s[6:7]
	v_fma_f64 v[199:200], v[102:103], s[50:51], v[170:171]
	v_add_f64 v[195:196], v[195:196], v[213:214]
	v_add_f64 v[183:184], v[193:194], v[183:184]
	;; [unrolled: 1-line block ×5, first 2 shown]
	v_fma_f64 v[197:198], v[164:165], s[14:15], -v[205:206]
	v_mul_f64 v[205:206], v[134:135], s[18:19]
	v_fma_f64 v[193:194], v[112:113], s[4:5], -v[217:218]
	v_add_f64 v[187:188], v[209:210], v[187:188]
	v_mul_f64 v[144:145], v[144:145], s[0:1]
	v_fma_f64 v[209:210], v[96:97], s[44:45], v[168:169]
	v_add_f64 v[148:149], v[199:200], v[195:196]
	v_add_f64 v[183:184], v[203:204], v[183:184]
	;; [unrolled: 1-line block ×5, first 2 shown]
	v_mul_f64 v[191:192], v[124:125], s[26:27]
	v_fma_f64 v[223:224], v[82:83], s[24:25], v[205:206]
	v_fma_f64 v[205:206], v[82:83], s[52:53], v[205:206]
	v_add_f64 v[187:188], v[193:194], v[187:188]
	v_mul_f64 v[134:135], v[134:135], s[4:5]
	v_fma_f64 v[193:194], v[90:91], s[42:43], v[144:145]
	v_add_f64 v[126:127], v[209:210], v[148:149]
	v_add_f64 v[148:149], v[185:186], v[183:184]
	;; [unrolled: 1-line block ×4, first 2 shown]
	v_fma_f64 v[140:141], v[166:167], s[6:7], -v[215:216]
	v_fma_f64 v[128:129], v[164:165], s[18:19], -v[219:220]
	v_fma_f64 v[183:184], v[82:83], s[46:47], v[134:135]
	v_mul_f64 v[124:125], v[124:125], s[34:35]
	v_add_f64 v[122:123], v[193:194], v[126:127]
	v_fma_f64 v[126:127], v[66:67], s[36:37], v[191:192]
	v_add_f64 v[120:121], v[205:206], v[148:149]
	v_add_f64 v[92:93], v[92:93], v[98:99]
	;; [unrolled: 1-line block ×4, first 2 shown]
	v_fma_f64 v[114:115], v[114:115], s[30:31], v[176:177]
	v_add_f64 v[189:190], v[221:222], v[189:190]
	v_add_f64 v[183:184], v[183:184], v[122:123]
	v_mul_f64 v[221:222], v[130:131], s[36:37]
	v_add_f64 v[122:123], v[126:127], v[120:121]
	v_mul_f64 v[126:127], v[158:159], s[30:31]
	v_add_f64 v[86:87], v[86:87], v[92:93]
	v_add_f64 v[88:89], v[88:89], v[94:95]
	v_add_f64 v[128:129], v[128:129], v[140:141]
	v_fma_f64 v[140:141], v[66:67], s[48:49], v[124:125]
	v_mul_f64 v[104:105], v[130:131], s[40:41]
	v_mul_f64 v[130:131], v[138:139], s[10:11]
	;; [unrolled: 1-line block ×3, first 2 shown]
	v_fma_f64 v[138:139], v[152:153], s[26:27], v[126:127]
	v_fma_f64 v[126:127], v[152:153], s[26:27], -v[126:127]
	v_add_f64 v[80:81], v[80:81], v[86:87]
	v_fma_f64 v[92:93], v[110:111], s[28:29], v[174:175]
	v_add_f64 v[46:47], v[46:47], v[114:115]
	v_add_f64 v[84:85], v[84:85], v[88:89]
	;; [unrolled: 1-line block ×3, first 2 shown]
	v_mul_f64 v[140:141], v[160:161], s[24:25]
	v_fma_f64 v[94:95], v[150:151], s[22:23], v[108:109]
	v_add_f64 v[138:139], v[44:45], v[138:139]
	v_fma_f64 v[108:109], v[150:151], s[22:23], -v[108:109]
	v_add_f64 v[44:45], v[44:45], v[126:127]
	v_add_f64 v[76:77], v[76:77], v[80:81]
	v_fma_f64 v[86:87], v[106:107], s[24:25], v[172:173]
	v_add_f64 v[46:47], v[92:93], v[46:47]
	v_add_f64 v[78:79], v[78:79], v[84:85]
	v_fma_f64 v[148:149], v[162:163], s[26:27], -v[221:222]
	v_mul_f64 v[98:99], v[154:155], s[20:21]
	v_fma_f64 v[92:93], v[146:147], s[18:19], -v[140:141]
	v_add_f64 v[44:45], v[108:109], v[44:45]
	v_add_f64 v[72:73], v[72:73], v[76:77]
	v_fma_f64 v[80:81], v[102:103], s[20:21], v[170:171]
	v_add_f64 v[46:47], v[86:87], v[46:47]
	v_add_f64 v[74:75], v[74:75], v[78:79]
	;; [unrolled: 1-line block ×3, first 2 shown]
	v_mul_f64 v[128:129], v[136:137], s[38:39]
	v_mul_f64 v[136:137], v[142:143], s[16:17]
	v_fma_f64 v[86:87], v[132:133], s[14:15], -v[98:99]
	v_add_f64 v[44:45], v[92:93], v[44:45]
	v_add_f64 v[64:65], v[64:65], v[72:73]
	v_fma_f64 v[76:77], v[96:97], s[16:17], v[168:169]
	v_add_f64 v[46:47], v[80:81], v[46:47]
	v_add_f64 v[70:71], v[70:71], v[74:75]
	v_fma_f64 v[72:73], v[90:91], s[10:11], v[144:145]
	v_fma_f64 v[80:81], v[112:113], s[6:7], -v[136:137]
	v_fma_f64 v[74:75], v[166:167], s[0:1], v[130:131]
	v_add_f64 v[44:45], v[86:87], v[44:45]
	v_add_f64 v[60:61], v[60:61], v[64:65]
	v_fma_f64 v[64:65], v[82:83], s[38:39], v[134:135]
	v_add_f64 v[46:47], v[76:77], v[46:47]
	v_add_f64 v[62:63], v[62:63], v[70:71]
	v_fma_f64 v[76:77], v[166:167], s[0:1], -v[130:131]
	v_fma_f64 v[207:208], v[162:163], s[4:5], -v[207:208]
	v_add_f64 v[179:180], v[197:198], v[179:180]
	v_add_f64 v[44:45], v[80:81], v[44:45]
	;; [unrolled: 1-line block ×3, first 2 shown]
	v_fma_f64 v[60:61], v[66:67], s[40:41], v[124:125]
	v_add_f64 v[46:47], v[72:73], v[46:47]
	v_add_f64 v[58:59], v[58:59], v[62:63]
	v_fma_f64 v[72:73], v[164:165], s[4:5], -v[128:129]
	v_fma_f64 v[88:89], v[146:147], s[18:19], v[140:141]
	v_add_f64 v[179:180], v[207:208], v[179:180]
	v_add_f64 v[44:45], v[76:77], v[44:45]
	;; [unrolled: 1-line block ×6, first 2 shown]
	v_mad_u64_u32 v[58:59], s[0:1], s2, v178, 0
	v_fma_f64 v[64:65], v[162:163], s[34:35], -v[104:105]
	v_add_f64 v[44:45], v[72:73], v[44:45]
	v_mov_b32_e32 v52, v59
	v_add_f64 v[50:51], v[50:51], v[56:57]
	v_add_u32_e32 v56, 17, v178
	v_add_f64 v[46:47], v[60:61], v[46:47]
	v_mad_u64_u32 v[59:60], s[0:1], s3, v178, v[52:53]
	v_add_f64 v[52:53], v[48:49], v[54:55]
	v_mad_u64_u32 v[54:55], s[0:1], s2, v56, 0
	v_mov_b32_e32 v48, s13
	v_add_co_u32_e32 v60, vcc, s12, v68
	v_add_f64 v[44:45], v[64:65], v[44:45]
	v_addc_co_u32_e32 v61, vcc, v48, v69, vcc
	v_lshlrev_b64 v[48:49], 4, v[58:59]
	v_mad_u64_u32 v[55:56], s[0:1], s3, v56, v[55:56]
	v_add_co_u32_e32 v48, vcc, v60, v48
	v_addc_co_u32_e32 v49, vcc, v61, v49, vcc
	v_add_u32_e32 v58, 34, v178
	v_mad_u64_u32 v[56:57], s[0:1], s2, v58, 0
	global_store_dwordx4 v[48:49], v[50:53], off
	v_lshlrev_b64 v[48:49], 4, v[54:55]
	v_mov_b32_e32 v50, v57
	v_add_co_u32_e32 v48, vcc, v60, v48
	v_addc_co_u32_e32 v49, vcc, v61, v49, vcc
	global_store_dwordx4 v[48:49], v[44:47], off
	v_add_u32_e32 v48, 51, v178
	v_mad_u64_u32 v[50:51], s[0:1], s3, v58, v[50:51]
	v_mad_u64_u32 v[46:47], s[0:1], s2, v48, 0
	v_mov_b32_e32 v57, v50
	v_add_u32_e32 v50, 0x44, v178
	v_mad_u64_u32 v[47:48], s[0:1], s3, v48, v[47:48]
	v_lshlrev_b64 v[44:45], 4, v[56:57]
	v_mad_u64_u32 v[48:49], s[0:1], s2, v50, 0
	v_add_co_u32_e32 v44, vcc, v60, v44
	v_addc_co_u32_e32 v45, vcc, v61, v45, vcc
	global_store_dwordx4 v[44:45], v[120:123], off
	v_lshlrev_b64 v[44:45], 4, v[46:47]
	v_mov_b32_e32 v46, v49
	v_mad_u64_u32 v[46:47], s[0:1], s3, v50, v[46:47]
	v_add_co_u32_e32 v44, vcc, v60, v44
	v_addc_co_u32_e32 v45, vcc, v61, v45, vcc
	v_mov_b32_e32 v49, v46
	global_store_dwordx4 v[44:45], v[179:182], off
	v_lshlrev_b64 v[44:45], 4, v[48:49]
	v_add_u32_e32 v48, 0x55, v178
	v_mad_u64_u32 v[46:47], s[0:1], s2, v48, 0
	v_add_co_u32_e32 v44, vcc, v60, v44
	v_mad_u64_u32 v[47:48], s[0:1], s3, v48, v[47:48]
	v_addc_co_u32_e32 v45, vcc, v61, v45, vcc
	v_add_u32_e32 v50, 0x66, v178
	v_mad_u64_u32 v[48:49], s[0:1], s2, v50, 0
	global_store_dwordx4 v[44:45], v[40:43], off
	v_fma_f64 v[84:85], v[132:133], s[14:15], v[98:99]
	v_lshlrev_b64 v[40:41], 4, v[46:47]
	v_mov_b32_e32 v42, v49
	v_add_co_u32_e32 v40, vcc, v60, v40
	v_addc_co_u32_e32 v41, vcc, v61, v41, vcc
	global_store_dwordx4 v[40:41], v[32:35], off
	v_add_u32_e32 v40, 0x77, v178
	v_mad_u64_u32 v[42:43], s[0:1], s3, v50, v[42:43]
	v_mad_u64_u32 v[34:35], s[0:1], s2, v40, 0
	v_mov_b32_e32 v49, v42
	v_lshlrev_b64 v[32:33], 4, v[48:49]
	v_mad_u64_u32 v[40:41], s[0:1], s3, v40, v[35:36]
	v_add_co_u32_e32 v32, vcc, v60, v32
	v_add_u32_e32 v43, 0x88, v178
	v_addc_co_u32_e32 v33, vcc, v61, v33, vcc
	v_mad_u64_u32 v[41:42], s[0:1], s2, v43, 0
	v_mov_b32_e32 v35, v40
	global_store_dwordx4 v[32:33], v[20:23], off
	v_add_f64 v[88:89], v[88:89], v[94:95]
	v_lshlrev_b64 v[20:21], 4, v[34:35]
	v_mov_b32_e32 v22, v42
	v_add_co_u32_e32 v20, vcc, v60, v20
	v_addc_co_u32_e32 v21, vcc, v61, v21, vcc
	v_mad_u64_u32 v[22:23], s[0:1], s3, v43, v[22:23]
	global_store_dwordx4 v[20:21], v[16:19], off
	v_add_u32_e32 v20, 0x99, v178
	v_mad_u64_u32 v[18:19], s[0:1], s2, v20, 0
	v_mov_b32_e32 v42, v22
	v_lshlrev_b64 v[16:17], 4, v[41:42]
	v_mad_u64_u32 v[19:20], s[0:1], s3, v20, v[19:20]
	v_add_co_u32_e32 v16, vcc, v60, v16
	v_addc_co_u32_e32 v17, vcc, v61, v17, vcc
	v_add_u32_e32 v22, 0xaa, v178
	v_mad_u64_u32 v[20:21], s[0:1], s2, v22, 0
	global_store_dwordx4 v[16:17], v[8:11], off
	v_fma_f64 v[78:79], v[112:113], s[6:7], v[136:137]
	v_lshlrev_b64 v[8:9], 4, v[18:19]
	v_mov_b32_e32 v10, v21
	v_add_co_u32_e32 v8, vcc, v60, v8
	v_addc_co_u32_e32 v9, vcc, v61, v9, vcc
	global_store_dwordx4 v[8:9], v[0:3], off
	v_add_u32_e32 v8, 0xbb, v178
	v_mad_u64_u32 v[10:11], s[0:1], s3, v22, v[10:11]
	v_mad_u64_u32 v[2:3], s[0:1], s2, v8, 0
	v_mov_b32_e32 v21, v10
	v_add_u32_e32 v11, 0xcc, v178
	v_mad_u64_u32 v[8:9], s[0:1], s3, v8, v[3:4]
	v_lshlrev_b64 v[0:1], 4, v[20:21]
	v_mad_u64_u32 v[9:10], s[0:1], s2, v11, 0
	v_add_co_u32_e32 v0, vcc, v60, v0
	v_addc_co_u32_e32 v1, vcc, v61, v1, vcc
	v_mov_b32_e32 v3, v8
	v_add_f64 v[84:85], v[84:85], v[88:89]
	global_store_dwordx4 v[0:1], v[4:7], off
	v_lshlrev_b64 v[0:1], 4, v[2:3]
	v_mov_b32_e32 v2, v10
	v_mad_u64_u32 v[2:3], s[0:1], s3, v11, v[2:3]
	v_add_u32_e32 v4, 0xdd, v178
	v_add_co_u32_e32 v0, vcc, v60, v0
	v_mov_b32_e32 v10, v2
	v_mad_u64_u32 v[2:3], s[0:1], s2, v4, 0
	v_add_f64 v[78:79], v[78:79], v[84:85]
	v_addc_co_u32_e32 v1, vcc, v61, v1, vcc
	v_mad_u64_u32 v[3:4], s[0:1], s3, v4, v[3:4]
	v_add_u32_e32 v6, 0xee, v178
	global_store_dwordx4 v[0:1], v[12:15], off
	v_lshlrev_b64 v[0:1], 4, v[9:10]
	v_mad_u64_u32 v[4:5], s[0:1], s2, v6, 0
	v_add_co_u32_e32 v0, vcc, v60, v0
	v_addc_co_u32_e32 v1, vcc, v61, v1, vcc
	global_store_dwordx4 v[0:1], v[24:27], off
	v_lshlrev_b64 v[0:1], 4, v[2:3]
	v_mov_b32_e32 v2, v5
	v_mad_u64_u32 v[2:3], s[0:1], s3, v6, v[2:3]
	v_fma_f64 v[70:71], v[164:165], s[4:5], v[128:129]
	v_add_f64 v[74:75], v[74:75], v[78:79]
	v_add_co_u32_e32 v0, vcc, v60, v0
	v_addc_co_u32_e32 v1, vcc, v61, v1, vcc
	v_mov_b32_e32 v5, v2
	v_fma_f64 v[197:198], v[66:67], s[30:31], v[191:192]
	v_add_f64 v[189:190], v[223:224], v[189:190]
	v_fma_f64 v[223:224], v[162:163], s[26:27], v[221:222]
	global_store_dwordx4 v[0:1], v[28:31], off
	v_lshlrev_b64 v[0:1], 4, v[4:5]
	v_add_u32_e32 v4, 0xff, v178
	v_mad_u64_u32 v[2:3], s[0:1], s2, v4, 0
	v_fma_f64 v[62:63], v[162:163], s[34:35], v[104:105]
	v_add_f64 v[70:71], v[70:71], v[74:75]
	v_mad_u64_u32 v[3:4], s[0:1], s3, v4, v[3:4]
	v_add_u32_e32 v6, 0x110, v178
	v_mad_u64_u32 v[4:5], s[0:1], s2, v6, 0
	v_add_f64 v[118:119], v[197:198], v[189:190]
	v_add_f64 v[116:117], v[223:224], v[201:202]
	v_add_co_u32_e32 v0, vcc, v60, v0
	v_addc_co_u32_e32 v1, vcc, v61, v1, vcc
	global_store_dwordx4 v[0:1], v[36:39], off
	v_lshlrev_b64 v[0:1], 4, v[2:3]
	v_mov_b32_e32 v2, v5
	v_mad_u64_u32 v[2:3], s[0:1], s3, v6, v[2:3]
	v_add_f64 v[98:99], v[62:63], v[70:71]
	v_add_co_u32_e32 v0, vcc, v60, v0
	v_addc_co_u32_e32 v1, vcc, v61, v1, vcc
	v_mov_b32_e32 v5, v2
	global_store_dwordx4 v[0:1], v[116:119], off
	v_lshlrev_b64 v[0:1], 4, v[4:5]
	v_add_co_u32_e32 v0, vcc, v60, v0
	v_addc_co_u32_e32 v1, vcc, v61, v1, vcc
	global_store_dwordx4 v[0:1], v[98:101], off
.LBB0_12:
	s_endpgm
	.section	.rodata,"a",@progbits
	.p2align	6, 0x0
	.amdhsa_kernel fft_rtc_fwd_len289_factors_17_17_wgs_119_tpt_17_halfLds_dp_ip_CI_sbrr_dirReg
		.amdhsa_group_segment_fixed_size 0
		.amdhsa_private_segment_fixed_size 0
		.amdhsa_kernarg_size 88
		.amdhsa_user_sgpr_count 6
		.amdhsa_user_sgpr_private_segment_buffer 1
		.amdhsa_user_sgpr_dispatch_ptr 0
		.amdhsa_user_sgpr_queue_ptr 0
		.amdhsa_user_sgpr_kernarg_segment_ptr 1
		.amdhsa_user_sgpr_dispatch_id 0
		.amdhsa_user_sgpr_flat_scratch_init 0
		.amdhsa_user_sgpr_private_segment_size 0
		.amdhsa_uses_dynamic_stack 0
		.amdhsa_system_sgpr_private_segment_wavefront_offset 0
		.amdhsa_system_sgpr_workgroup_id_x 1
		.amdhsa_system_sgpr_workgroup_id_y 0
		.amdhsa_system_sgpr_workgroup_id_z 0
		.amdhsa_system_sgpr_workgroup_info 0
		.amdhsa_system_vgpr_workitem_id 0
		.amdhsa_next_free_vgpr 229
		.amdhsa_next_free_sgpr 58
		.amdhsa_reserve_vcc 1
		.amdhsa_reserve_flat_scratch 0
		.amdhsa_float_round_mode_32 0
		.amdhsa_float_round_mode_16_64 0
		.amdhsa_float_denorm_mode_32 3
		.amdhsa_float_denorm_mode_16_64 3
		.amdhsa_dx10_clamp 1
		.amdhsa_ieee_mode 1
		.amdhsa_fp16_overflow 0
		.amdhsa_exception_fp_ieee_invalid_op 0
		.amdhsa_exception_fp_denorm_src 0
		.amdhsa_exception_fp_ieee_div_zero 0
		.amdhsa_exception_fp_ieee_overflow 0
		.amdhsa_exception_fp_ieee_underflow 0
		.amdhsa_exception_fp_ieee_inexact 0
		.amdhsa_exception_int_div_zero 0
	.end_amdhsa_kernel
	.text
.Lfunc_end0:
	.size	fft_rtc_fwd_len289_factors_17_17_wgs_119_tpt_17_halfLds_dp_ip_CI_sbrr_dirReg, .Lfunc_end0-fft_rtc_fwd_len289_factors_17_17_wgs_119_tpt_17_halfLds_dp_ip_CI_sbrr_dirReg
                                        ; -- End function
	.section	.AMDGPU.csdata,"",@progbits
; Kernel info:
; codeLenInByte = 15868
; NumSgprs: 62
; NumVgprs: 229
; ScratchSize: 0
; MemoryBound: 1
; FloatMode: 240
; IeeeMode: 1
; LDSByteSize: 0 bytes/workgroup (compile time only)
; SGPRBlocks: 7
; VGPRBlocks: 57
; NumSGPRsForWavesPerEU: 62
; NumVGPRsForWavesPerEU: 229
; Occupancy: 1
; WaveLimiterHint : 1
; COMPUTE_PGM_RSRC2:SCRATCH_EN: 0
; COMPUTE_PGM_RSRC2:USER_SGPR: 6
; COMPUTE_PGM_RSRC2:TRAP_HANDLER: 0
; COMPUTE_PGM_RSRC2:TGID_X_EN: 1
; COMPUTE_PGM_RSRC2:TGID_Y_EN: 0
; COMPUTE_PGM_RSRC2:TGID_Z_EN: 0
; COMPUTE_PGM_RSRC2:TIDIG_COMP_CNT: 0
	.type	__hip_cuid_55bbcb6662b8b5cb,@object ; @__hip_cuid_55bbcb6662b8b5cb
	.section	.bss,"aw",@nobits
	.globl	__hip_cuid_55bbcb6662b8b5cb
__hip_cuid_55bbcb6662b8b5cb:
	.byte	0                               ; 0x0
	.size	__hip_cuid_55bbcb6662b8b5cb, 1

	.ident	"AMD clang version 19.0.0git (https://github.com/RadeonOpenCompute/llvm-project roc-6.4.0 25133 c7fe45cf4b819c5991fe208aaa96edf142730f1d)"
	.section	".note.GNU-stack","",@progbits
	.addrsig
	.addrsig_sym __hip_cuid_55bbcb6662b8b5cb
	.amdgpu_metadata
---
amdhsa.kernels:
  - .args:
      - .actual_access:  read_only
        .address_space:  global
        .offset:         0
        .size:           8
        .value_kind:     global_buffer
      - .offset:         8
        .size:           8
        .value_kind:     by_value
      - .actual_access:  read_only
        .address_space:  global
        .offset:         16
        .size:           8
        .value_kind:     global_buffer
      - .actual_access:  read_only
        .address_space:  global
        .offset:         24
        .size:           8
        .value_kind:     global_buffer
      - .offset:         32
        .size:           8
        .value_kind:     by_value
      - .actual_access:  read_only
        .address_space:  global
        .offset:         40
        .size:           8
        .value_kind:     global_buffer
      - .actual_access:  read_only
        .address_space:  global
        .offset:         48
        .size:           8
        .value_kind:     global_buffer
      - .offset:         56
        .size:           4
        .value_kind:     by_value
      - .actual_access:  read_only
        .address_space:  global
        .offset:         64
        .size:           8
        .value_kind:     global_buffer
      - .actual_access:  read_only
        .address_space:  global
        .offset:         72
        .size:           8
        .value_kind:     global_buffer
      - .address_space:  global
        .offset:         80
        .size:           8
        .value_kind:     global_buffer
    .group_segment_fixed_size: 0
    .kernarg_segment_align: 8
    .kernarg_segment_size: 88
    .language:       OpenCL C
    .language_version:
      - 2
      - 0
    .max_flat_workgroup_size: 119
    .name:           fft_rtc_fwd_len289_factors_17_17_wgs_119_tpt_17_halfLds_dp_ip_CI_sbrr_dirReg
    .private_segment_fixed_size: 0
    .sgpr_count:     62
    .sgpr_spill_count: 0
    .symbol:         fft_rtc_fwd_len289_factors_17_17_wgs_119_tpt_17_halfLds_dp_ip_CI_sbrr_dirReg.kd
    .uniform_work_group_size: 1
    .uses_dynamic_stack: false
    .vgpr_count:     229
    .vgpr_spill_count: 0
    .wavefront_size: 64
amdhsa.target:   amdgcn-amd-amdhsa--gfx906
amdhsa.version:
  - 1
  - 2
...

	.end_amdgpu_metadata
